;; amdgpu-corpus repo=ROCm/hip-tests kind=compiled arch=gfx1030 opt=O3
	.amdgcn_target "amdgcn-amd-amdhsa--gfx1030"
	.amdhsa_code_object_version 6
	.section	.text._Z8vec_fillIiEvPT_S0_i,"axG",@progbits,_Z8vec_fillIiEvPT_S0_i,comdat
	.protected	_Z8vec_fillIiEvPT_S0_i  ; -- Begin function _Z8vec_fillIiEvPT_S0_i
	.globl	_Z8vec_fillIiEvPT_S0_i
	.p2align	8
	.type	_Z8vec_fillIiEvPT_S0_i,@function
_Z8vec_fillIiEvPT_S0_i:                 ; @_Z8vec_fillIiEvPT_S0_i
; %bb.0:
	s_clause 0x1
	s_load_dword s7, s[4:5], 0x1c
	s_load_dwordx2 s[0:1], s[4:5], 0x8
	s_add_u32 s2, s4, 16
	s_addc_u32 s3, s5, 0
	s_waitcnt lgkmcnt(0)
	s_and_b32 s7, s7, 0xffff
	v_mad_u64_u32 v[0:1], null, s6, s7, v[0:1]
	s_mov_b32 s6, exec_lo
	v_cmpx_gt_i32_e64 s1, v0
	s_cbranch_execz .LBB0_3
; %bb.1:
	s_load_dword s2, s[2:3], 0x0
	s_load_dwordx2 s[4:5], s[4:5], 0x0
	v_ashrrev_i32_e32 v1, 31, v0
	v_mul_lo_u32 v3, s0, v0
	v_lshlrev_b64 v[1:2], 2, v[0:1]
	s_waitcnt lgkmcnt(0)
	s_mul_i32 s2, s2, s7
	v_add_co_u32 v1, vcc_lo, s4, v1
	v_add_co_ci_u32_e64 v2, null, s5, v2, vcc_lo
	s_ashr_i32 s3, s2, 31
	s_mul_i32 s6, s2, s0
	s_lshl_b64 s[4:5], s[2:3], 2
	s_mov_b32 s3, 0
.LBB0_2:                                ; =>This Inner Loop Header: Depth=1
	v_add_nc_u32_e32 v0, s2, v0
	global_store_dword v[1:2], v3, off
	v_add_co_u32 v1, vcc_lo, v1, s4
	v_add_co_ci_u32_e64 v2, null, s5, v2, vcc_lo
	v_cmp_le_i32_e64 s0, s1, v0
	v_add_nc_u32_e32 v3, s6, v3
	s_or_b32 s3, s0, s3
	s_andn2_b32 exec_lo, exec_lo, s3
	s_cbranch_execnz .LBB0_2
.LBB0_3:
	s_endpgm
	.section	.rodata,"a",@progbits
	.p2align	6, 0x0
	.amdhsa_kernel _Z8vec_fillIiEvPT_S0_i
		.amdhsa_group_segment_fixed_size 0
		.amdhsa_private_segment_fixed_size 0
		.amdhsa_kernarg_size 272
		.amdhsa_user_sgpr_count 6
		.amdhsa_user_sgpr_private_segment_buffer 1
		.amdhsa_user_sgpr_dispatch_ptr 0
		.amdhsa_user_sgpr_queue_ptr 0
		.amdhsa_user_sgpr_kernarg_segment_ptr 1
		.amdhsa_user_sgpr_dispatch_id 0
		.amdhsa_user_sgpr_flat_scratch_init 0
		.amdhsa_user_sgpr_private_segment_size 0
		.amdhsa_wavefront_size32 1
		.amdhsa_uses_dynamic_stack 0
		.amdhsa_system_sgpr_private_segment_wavefront_offset 0
		.amdhsa_system_sgpr_workgroup_id_x 1
		.amdhsa_system_sgpr_workgroup_id_y 0
		.amdhsa_system_sgpr_workgroup_id_z 0
		.amdhsa_system_sgpr_workgroup_info 0
		.amdhsa_system_vgpr_workitem_id 0
		.amdhsa_next_free_vgpr 4
		.amdhsa_next_free_sgpr 8
		.amdhsa_reserve_vcc 1
		.amdhsa_reserve_flat_scratch 0
		.amdhsa_float_round_mode_32 0
		.amdhsa_float_round_mode_16_64 0
		.amdhsa_float_denorm_mode_32 3
		.amdhsa_float_denorm_mode_16_64 3
		.amdhsa_dx10_clamp 1
		.amdhsa_ieee_mode 1
		.amdhsa_fp16_overflow 0
		.amdhsa_workgroup_processor_mode 1
		.amdhsa_memory_ordered 1
		.amdhsa_forward_progress 1
		.amdhsa_shared_vgpr_count 0
		.amdhsa_exception_fp_ieee_invalid_op 0
		.amdhsa_exception_fp_denorm_src 0
		.amdhsa_exception_fp_ieee_div_zero 0
		.amdhsa_exception_fp_ieee_overflow 0
		.amdhsa_exception_fp_ieee_underflow 0
		.amdhsa_exception_fp_ieee_inexact 0
		.amdhsa_exception_int_div_zero 0
	.end_amdhsa_kernel
	.section	.text._Z8vec_fillIiEvPT_S0_i,"axG",@progbits,_Z8vec_fillIiEvPT_S0_i,comdat
.Lfunc_end0:
	.size	_Z8vec_fillIiEvPT_S0_i, .Lfunc_end0-_Z8vec_fillIiEvPT_S0_i
                                        ; -- End function
	.set _Z8vec_fillIiEvPT_S0_i.num_vgpr, 4
	.set _Z8vec_fillIiEvPT_S0_i.num_agpr, 0
	.set _Z8vec_fillIiEvPT_S0_i.numbered_sgpr, 8
	.set _Z8vec_fillIiEvPT_S0_i.num_named_barrier, 0
	.set _Z8vec_fillIiEvPT_S0_i.private_seg_size, 0
	.set _Z8vec_fillIiEvPT_S0_i.uses_vcc, 1
	.set _Z8vec_fillIiEvPT_S0_i.uses_flat_scratch, 0
	.set _Z8vec_fillIiEvPT_S0_i.has_dyn_sized_stack, 0
	.set _Z8vec_fillIiEvPT_S0_i.has_recursion, 0
	.set _Z8vec_fillIiEvPT_S0_i.has_indirect_call, 0
	.section	.AMDGPU.csdata,"",@progbits
; Kernel info:
; codeLenInByte = 196
; TotalNumSgprs: 10
; NumVgprs: 4
; ScratchSize: 0
; MemoryBound: 0
; FloatMode: 240
; IeeeMode: 1
; LDSByteSize: 0 bytes/workgroup (compile time only)
; SGPRBlocks: 0
; VGPRBlocks: 0
; NumSGPRsForWavesPerEU: 10
; NumVGPRsForWavesPerEU: 4
; Occupancy: 16
; WaveLimiterHint : 0
; COMPUTE_PGM_RSRC2:SCRATCH_EN: 0
; COMPUTE_PGM_RSRC2:USER_SGPR: 6
; COMPUTE_PGM_RSRC2:TRAP_HANDLER: 0
; COMPUTE_PGM_RSRC2:TGID_X_EN: 1
; COMPUTE_PGM_RSRC2:TGID_Y_EN: 0
; COMPUTE_PGM_RSRC2:TGID_Z_EN: 0
; COMPUTE_PGM_RSRC2:TIDIG_COMP_CNT: 0
	.section	.text._Z10vec_verifyIiEvPT_S0_i,"axG",@progbits,_Z10vec_verifyIiEvPT_S0_i,comdat
	.protected	_Z10vec_verifyIiEvPT_S0_i ; -- Begin function _Z10vec_verifyIiEvPT_S0_i
	.globl	_Z10vec_verifyIiEvPT_S0_i
	.p2align	8
	.type	_Z10vec_verifyIiEvPT_S0_i,@function
_Z10vec_verifyIiEvPT_S0_i:              ; @_Z10vec_verifyIiEvPT_S0_i
; %bb.0:
	s_clause 0x1
	s_load_dword s0, s[4:5], 0x1c
	s_load_dwordx2 s[2:3], s[4:5], 0x8
	s_add_u32 s8, s4, 16
	s_addc_u32 s9, s5, 0
	s_mov_b32 s1, exec_lo
	s_waitcnt lgkmcnt(0)
	s_and_b32 s0, s0, 0xffff
	v_mad_u64_u32 v[34:35], null, s6, s0, v[0:1]
	v_cmpx_gt_i32_e64 s3, v34
	s_cbranch_execz .LBB1_215
; %bb.1:
	s_load_dword s23, s[8:9], 0x0
	s_load_dwordx2 s[10:11], s[4:5], 0x0
	v_mbcnt_lo_u32_b32 v36, -1, 0
	s_getpc_b64 s[6:7]
	s_add_u32 s6, s6, .str.1@rel32@lo+4
	s_addc_u32 s7, s7, .str.1@rel32@hi+12
	v_mov_b32_e32 v1, 0
	v_mov_b32_e32 v2, 2
	;; [unrolled: 1-line block ×4, first 2 shown]
	v_lshlrev_b32_e32 v37, 6, v36
	s_cmp_lg_u64 s[6:7], 0
	s_mov_b32 s4, 0
	s_cselect_b32 s22, -1, 0
	s_mov_b32 s24, 0
	s_waitcnt lgkmcnt(0)
	s_mul_i32 s23, s23, s0
	s_branch .LBB1_3
.LBB1_2:                                ;   in Loop: Header=BB1_3 Depth=1
	s_or_b32 exec_lo, exec_lo, s25
	v_add_nc_u32_e32 v34, s23, v34
	v_cmp_le_i32_e32 vcc_lo, s3, v34
	s_or_b32 s24, vcc_lo, s24
	s_andn2_b32 exec_lo, exec_lo, s24
	s_cbranch_execz .LBB1_215
.LBB1_3:                                ; =>This Loop Header: Depth=1
                                        ;     Child Loop BB1_7 Depth 2
                                        ;     Child Loop BB1_15 Depth 2
	;; [unrolled: 1-line block ×9, first 2 shown]
                                        ;       Child Loop BB1_36 Depth 3
                                        ;       Child Loop BB1_43 Depth 3
	;; [unrolled: 1-line block ×11, first 2 shown]
                                        ;     Child Loop BB1_140 Depth 2
                                        ;     Child Loop BB1_148 Depth 2
	;; [unrolled: 1-line block ×12, first 2 shown]
	v_ashrrev_i32_e32 v35, 31, v34
	v_mul_lo_u32 v8, v34, s2
	s_mov_b32 s25, exec_lo
	v_lshlrev_b64 v[5:6], 2, v[34:35]
	v_add_co_u32 v5, vcc_lo, s10, v5
	v_add_co_ci_u32_e64 v6, null, s11, v6, vcc_lo
	global_load_dword v11, v[5:6], off
	s_waitcnt vmcnt(0)
	v_cmpx_ne_u32_e64 v11, v8
	s_cbranch_execz .LBB1_2
; %bb.4:                                ;   in Loop: Header=BB1_3 Depth=1
	s_load_dwordx2 s[12:13], s[8:9], 0x50
	v_readfirstlane_b32 s0, v36
	v_mov_b32_e32 v5, 0
	v_mov_b32_e32 v6, 0
	v_cmp_eq_u32_e64 s0, s0, v36
	s_and_saveexec_b32 s1, s0
	s_cbranch_execz .LBB1_10
; %bb.5:                                ;   in Loop: Header=BB1_3 Depth=1
	s_waitcnt lgkmcnt(0)
	global_load_dwordx2 v[14:15], v1, s[12:13] offset:24 glc dlc
	s_waitcnt vmcnt(0)
	buffer_gl1_inv
	buffer_gl0_inv
	s_clause 0x1
	global_load_dwordx2 v[5:6], v1, s[12:13] offset:40
	global_load_dwordx2 v[9:10], v1, s[12:13]
	s_mov_b32 s5, exec_lo
	s_waitcnt vmcnt(1)
	v_and_b32_e32 v0, v6, v15
	v_and_b32_e32 v5, v5, v14
	v_mul_lo_u32 v0, v0, 24
	v_mul_hi_u32 v6, v5, 24
	v_mul_lo_u32 v5, v5, 24
	v_add_nc_u32_e32 v0, v6, v0
	s_waitcnt vmcnt(0)
	v_add_co_u32 v5, vcc_lo, v9, v5
	v_add_co_ci_u32_e64 v6, null, v10, v0, vcc_lo
	global_load_dwordx2 v[12:13], v[5:6], off glc dlc
	s_waitcnt vmcnt(0)
	global_atomic_cmpswap_x2 v[5:6], v1, v[12:15], s[12:13] offset:24 glc
	s_waitcnt vmcnt(0)
	buffer_gl1_inv
	buffer_gl0_inv
	v_cmpx_ne_u64_e64 v[5:6], v[14:15]
	s_cbranch_execz .LBB1_9
; %bb.6:                                ;   in Loop: Header=BB1_3 Depth=1
	s_mov_b32 s6, 0
	.p2align	6
.LBB1_7:                                ;   Parent Loop BB1_3 Depth=1
                                        ; =>  This Inner Loop Header: Depth=2
	s_sleep 1
	s_clause 0x1
	global_load_dwordx2 v[9:10], v1, s[12:13] offset:40
	global_load_dwordx2 v[12:13], v1, s[12:13]
	v_mov_b32_e32 v15, v6
	v_mov_b32_e32 v14, v5
	s_waitcnt vmcnt(1)
	v_and_b32_e32 v0, v9, v14
	v_and_b32_e32 v7, v10, v15
	s_waitcnt vmcnt(0)
	v_mad_u64_u32 v[5:6], null, v0, 24, v[12:13]
	v_mov_b32_e32 v0, v6
	v_mad_u64_u32 v[6:7], null, v7, 24, v[0:1]
	global_load_dwordx2 v[12:13], v[5:6], off glc dlc
	s_waitcnt vmcnt(0)
	global_atomic_cmpswap_x2 v[5:6], v1, v[12:15], s[12:13] offset:24 glc
	s_waitcnt vmcnt(0)
	buffer_gl1_inv
	buffer_gl0_inv
	v_cmp_eq_u64_e32 vcc_lo, v[5:6], v[14:15]
	s_or_b32 s6, vcc_lo, s6
	s_andn2_b32 exec_lo, exec_lo, s6
	s_cbranch_execnz .LBB1_7
; %bb.8:                                ;   in Loop: Header=BB1_3 Depth=1
	s_or_b32 exec_lo, exec_lo, s6
.LBB1_9:                                ;   in Loop: Header=BB1_3 Depth=1
	s_or_b32 exec_lo, exec_lo, s5
.LBB1_10:                               ;   in Loop: Header=BB1_3 Depth=1
	s_or_b32 exec_lo, exec_lo, s1
	s_waitcnt lgkmcnt(0)
	s_clause 0x1
	global_load_dwordx2 v[9:10], v1, s[12:13] offset:40
	global_load_dwordx4 v[12:15], v1, s[12:13]
	v_readfirstlane_b32 s15, v6
	v_readfirstlane_b32 s14, v5
	s_mov_b32 s1, exec_lo
	s_waitcnt vmcnt(1)
	v_readfirstlane_b32 s6, v9
	v_readfirstlane_b32 s7, v10
	s_and_b64 s[6:7], s[6:7], s[14:15]
	s_mul_i32 s5, s7, 24
	s_mul_hi_u32 s16, s6, 24
	s_mul_i32 s17, s6, 24
	s_add_i32 s16, s16, s5
	s_waitcnt vmcnt(0)
	v_add_co_u32 v9, vcc_lo, v12, s17
	v_add_co_ci_u32_e64 v10, null, s16, v13, vcc_lo
	s_and_saveexec_b32 s5, s0
	s_cbranch_execz .LBB1_12
; %bb.11:                               ;   in Loop: Header=BB1_3 Depth=1
	v_mov_b32_e32 v0, s1
	global_store_dwordx4 v[9:10], v[0:3], off offset:8
.LBB1_12:                               ;   in Loop: Header=BB1_3 Depth=1
	s_or_b32 exec_lo, exec_lo, s5
	s_lshl_b64 s[6:7], s[6:7], 12
	s_mov_b32 s5, s4
	v_add_co_u32 v16, vcc_lo, v14, s6
	v_add_co_ci_u32_e64 v17, null, s7, v15, vcc_lo
	s_mov_b32 s7, s4
	s_mov_b32 s6, s4
	v_mov_b32_e32 v5, v1
	v_mov_b32_e32 v6, v1
	;; [unrolled: 1-line block ×3, first 2 shown]
	v_readfirstlane_b32 s16, v16
	v_readfirstlane_b32 s17, v17
	v_mov_b32_e32 v21, s7
	v_mov_b32_e32 v20, s6
	;; [unrolled: 1-line block ×4, first 2 shown]
	global_store_dwordx4 v37, v[4:7], s[16:17]
	global_store_dwordx4 v37, v[18:21], s[16:17] offset:16
	global_store_dwordx4 v37, v[18:21], s[16:17] offset:32
	;; [unrolled: 1-line block ×3, first 2 shown]
	s_and_saveexec_b32 s1, s0
	s_cbranch_execz .LBB1_20
; %bb.13:                               ;   in Loop: Header=BB1_3 Depth=1
	s_clause 0x1
	global_load_dwordx2 v[20:21], v1, s[12:13] offset:32 glc dlc
	global_load_dwordx2 v[5:6], v1, s[12:13] offset:40
	v_mov_b32_e32 v18, s14
	v_mov_b32_e32 v19, s15
	s_mov_b32 s5, exec_lo
	s_waitcnt vmcnt(0)
	v_and_b32_e32 v0, s15, v6
	v_and_b32_e32 v5, s14, v5
	v_mul_lo_u32 v0, v0, 24
	v_mul_hi_u32 v6, v5, 24
	v_mul_lo_u32 v5, v5, 24
	v_add_nc_u32_e32 v0, v6, v0
	v_add_co_u32 v5, vcc_lo, v12, v5
	v_add_co_ci_u32_e64 v6, null, v13, v0, vcc_lo
	global_store_dwordx2 v[5:6], v[20:21], off
	s_waitcnt_vscnt null, 0x0
	global_atomic_cmpswap_x2 v[14:15], v1, v[18:21], s[12:13] offset:32 glc
	s_waitcnt vmcnt(0)
	v_cmpx_ne_u64_e64 v[14:15], v[20:21]
	s_cbranch_execz .LBB1_16
; %bb.14:                               ;   in Loop: Header=BB1_3 Depth=1
	s_mov_b32 s6, 0
.LBB1_15:                               ;   Parent Loop BB1_3 Depth=1
                                        ; =>  This Inner Loop Header: Depth=2
	v_mov_b32_e32 v12, s14
	v_mov_b32_e32 v13, s15
	s_sleep 1
	global_store_dwordx2 v[5:6], v[14:15], off
	s_waitcnt_vscnt null, 0x0
	global_atomic_cmpswap_x2 v[12:13], v1, v[12:15], s[12:13] offset:32 glc
	s_waitcnt vmcnt(0)
	v_cmp_eq_u64_e32 vcc_lo, v[12:13], v[14:15]
	v_mov_b32_e32 v15, v13
	v_mov_b32_e32 v14, v12
	s_or_b32 s6, vcc_lo, s6
	s_andn2_b32 exec_lo, exec_lo, s6
	s_cbranch_execnz .LBB1_15
.LBB1_16:                               ;   in Loop: Header=BB1_3 Depth=1
	s_or_b32 exec_lo, exec_lo, s5
	global_load_dwordx2 v[5:6], v1, s[12:13] offset:16
	s_mov_b32 s6, exec_lo
	s_mov_b32 s5, exec_lo
	v_mbcnt_lo_u32_b32 v0, s6, 0
	v_cmpx_eq_u32_e32 0, v0
	s_cbranch_execz .LBB1_18
; %bb.17:                               ;   in Loop: Header=BB1_3 Depth=1
	s_bcnt1_i32_b32 s6, s6
	v_mov_b32_e32 v0, s6
	s_waitcnt vmcnt(0)
	global_atomic_add_x2 v[5:6], v[0:1], off offset:8
.LBB1_18:                               ;   in Loop: Header=BB1_3 Depth=1
	s_or_b32 exec_lo, exec_lo, s5
	s_waitcnt vmcnt(0)
	global_load_dwordx2 v[12:13], v[5:6], off offset:16
	s_waitcnt vmcnt(0)
	v_cmp_eq_u64_e32 vcc_lo, 0, v[12:13]
	s_cbranch_vccnz .LBB1_20
; %bb.19:                               ;   in Loop: Header=BB1_3 Depth=1
	global_load_dword v0, v[5:6], off offset:24
	s_waitcnt vmcnt(0)
	v_readfirstlane_b32 s5, v0
	s_waitcnt_vscnt null, 0x0
	global_store_dwordx2 v[12:13], v[0:1], off
	s_and_b32 m0, s5, 0x7fffff
	s_sendmsg sendmsg(MSG_INTERRUPT)
.LBB1_20:                               ;   in Loop: Header=BB1_3 Depth=1
	s_or_b32 exec_lo, exec_lo, s1
	v_add_co_u32 v5, vcc_lo, v16, v37
	v_add_co_ci_u32_e64 v6, null, 0, v17, vcc_lo
	s_branch .LBB1_24
	.p2align	6
.LBB1_21:                               ;   in Loop: Header=BB1_24 Depth=2
	s_or_b32 exec_lo, exec_lo, s1
	v_readfirstlane_b32 s1, v0
	s_cmp_eq_u32 s1, 0
	s_cbranch_scc1 .LBB1_23
; %bb.22:                               ;   in Loop: Header=BB1_24 Depth=2
	s_sleep 1
	s_cbranch_execnz .LBB1_24
	s_branch .LBB1_26
	.p2align	6
.LBB1_23:                               ;   in Loop: Header=BB1_3 Depth=1
	s_branch .LBB1_26
.LBB1_24:                               ;   Parent Loop BB1_3 Depth=1
                                        ; =>  This Inner Loop Header: Depth=2
	v_mov_b32_e32 v0, 1
	s_and_saveexec_b32 s1, s0
	s_cbranch_execz .LBB1_21
; %bb.25:                               ;   in Loop: Header=BB1_24 Depth=2
	global_load_dword v0, v[9:10], off offset:20 glc dlc
	s_waitcnt vmcnt(0)
	buffer_gl1_inv
	buffer_gl0_inv
	v_and_b32_e32 v0, 1, v0
	s_branch .LBB1_21
.LBB1_26:                               ;   in Loop: Header=BB1_3 Depth=1
	global_load_dwordx2 v[12:13], v[5:6], off
	s_and_saveexec_b32 s5, s0
	s_cbranch_execz .LBB1_30
; %bb.27:                               ;   in Loop: Header=BB1_3 Depth=1
	s_clause 0x2
	global_load_dwordx2 v[5:6], v1, s[12:13] offset:40
	global_load_dwordx2 v[18:19], v1, s[12:13] offset:24 glc dlc
	global_load_dwordx2 v[9:10], v1, s[12:13]
	s_waitcnt vmcnt(2)
	v_readfirstlane_b32 s6, v5
	v_readfirstlane_b32 s7, v6
	s_add_u32 s16, s6, 1
	s_addc_u32 s17, s7, 0
	s_add_u32 s0, s16, s14
	s_addc_u32 s1, s17, s15
	s_cmp_eq_u64 s[0:1], 0
	s_cselect_b32 s1, s17, s1
	s_cselect_b32 s0, s16, s0
	v_mov_b32_e32 v17, s1
	s_and_b64 s[6:7], s[0:1], s[6:7]
	v_mov_b32_e32 v16, s0
	s_mul_i32 s7, s7, 24
	s_mul_hi_u32 s14, s6, 24
	s_mul_i32 s6, s6, 24
	s_add_i32 s14, s14, s7
	s_waitcnt vmcnt(0)
	v_add_co_u32 v5, vcc_lo, v9, s6
	v_add_co_ci_u32_e64 v6, null, s14, v10, vcc_lo
	global_store_dwordx2 v[5:6], v[18:19], off
	s_waitcnt_vscnt null, 0x0
	global_atomic_cmpswap_x2 v[16:17], v1, v[16:19], s[12:13] offset:24 glc
	s_waitcnt vmcnt(0)
	v_cmp_ne_u64_e32 vcc_lo, v[16:17], v[18:19]
	s_and_b32 exec_lo, exec_lo, vcc_lo
	s_cbranch_execz .LBB1_30
; %bb.28:                               ;   in Loop: Header=BB1_3 Depth=1
	s_mov_b32 s6, 0
.LBB1_29:                               ;   Parent Loop BB1_3 Depth=1
                                        ; =>  This Inner Loop Header: Depth=2
	v_mov_b32_e32 v14, s0
	v_mov_b32_e32 v15, s1
	s_sleep 1
	global_store_dwordx2 v[5:6], v[16:17], off
	s_waitcnt_vscnt null, 0x0
	global_atomic_cmpswap_x2 v[9:10], v1, v[14:17], s[12:13] offset:24 glc
	s_waitcnt vmcnt(0)
	v_cmp_eq_u64_e32 vcc_lo, v[9:10], v[16:17]
	v_mov_b32_e32 v17, v10
	v_mov_b32_e32 v16, v9
	s_or_b32 s6, vcc_lo, s6
	s_andn2_b32 exec_lo, exec_lo, s6
	s_cbranch_execnz .LBB1_29
.LBB1_30:                               ;   in Loop: Header=BB1_3 Depth=1
	s_or_b32 exec_lo, exec_lo, s5
	s_and_b32 vcc_lo, exec_lo, s22
	s_cbranch_vccz .LBB1_109
; %bb.31:                               ;   in Loop: Header=BB1_3 Depth=1
	s_waitcnt vmcnt(0)
	v_and_b32_e32 v7, 2, v12
	v_and_b32_e32 v14, -3, v12
	v_mov_b32_e32 v15, v13
	s_mov_b64 s[14:15], 35
	s_getpc_b64 s[6:7]
	s_add_u32 s6, s6, .str.1@rel32@lo+4
	s_addc_u32 s7, s7, .str.1@rel32@hi+12
	s_branch .LBB1_33
.LBB1_32:                               ;   in Loop: Header=BB1_33 Depth=2
	s_or_b32 exec_lo, exec_lo, s5
	s_sub_u32 s14, s14, s16
	s_subb_u32 s15, s15, s17
	s_add_u32 s6, s6, s16
	s_addc_u32 s7, s7, s17
	s_cmp_lg_u64 s[14:15], 0
	s_cbranch_scc0 .LBB1_108
.LBB1_33:                               ;   Parent Loop BB1_3 Depth=1
                                        ; =>  This Loop Header: Depth=2
                                        ;       Child Loop BB1_36 Depth 3
                                        ;       Child Loop BB1_43 Depth 3
	;; [unrolled: 1-line block ×11, first 2 shown]
	v_cmp_lt_u64_e64 s0, s[14:15], 56
	v_cmp_gt_u64_e64 s5, s[14:15], 7
	s_and_b32 s0, s0, exec_lo
	s_cselect_b32 s17, s15, 0
	s_cselect_b32 s16, s14, 56
	s_add_u32 s0, s6, 8
	s_addc_u32 s1, s7, 0
	s_and_b32 vcc_lo, exec_lo, s5
	s_cbranch_vccnz .LBB1_38
; %bb.34:                               ;   in Loop: Header=BB1_33 Depth=2
	v_mov_b32_e32 v16, 0
	v_mov_b32_e32 v17, 0
	s_cmp_eq_u64 s[14:15], 0
	s_cbranch_scc1 .LBB1_37
; %bb.35:                               ;   in Loop: Header=BB1_33 Depth=2
	s_lshl_b64 s[0:1], s[16:17], 3
	s_mov_b64 s[18:19], 0
	s_mov_b64 s[20:21], s[6:7]
.LBB1_36:                               ;   Parent Loop BB1_3 Depth=1
                                        ;     Parent Loop BB1_33 Depth=2
                                        ; =>    This Inner Loop Header: Depth=3
	global_load_ubyte v0, v1, s[20:21]
	s_waitcnt vmcnt(0)
	v_and_b32_e32 v0, 0xffff, v0
	v_lshlrev_b64 v[5:6], s18, v[0:1]
	s_add_u32 s18, s18, 8
	s_addc_u32 s19, s19, 0
	s_add_u32 s20, s20, 1
	s_addc_u32 s21, s21, 0
	s_cmp_lg_u32 s0, s18
	v_or_b32_e32 v16, v5, v16
	v_or_b32_e32 v17, v6, v17
	s_cbranch_scc1 .LBB1_36
.LBB1_37:                               ;   in Loop: Header=BB1_33 Depth=2
	s_mov_b64 s[0:1], s[6:7]
	s_mov_b32 s5, 0
	s_cbranch_execz .LBB1_39
	s_branch .LBB1_40
.LBB1_38:                               ;   in Loop: Header=BB1_33 Depth=2
	s_mov_b32 s5, 0
.LBB1_39:                               ;   in Loop: Header=BB1_33 Depth=2
	global_load_dwordx2 v[16:17], v1, s[6:7]
	s_add_i32 s5, s16, -8
.LBB1_40:                               ;   in Loop: Header=BB1_33 Depth=2
	s_add_u32 s18, s0, 8
	s_addc_u32 s19, s1, 0
	s_cmp_gt_u32 s5, 7
	s_cbranch_scc1 .LBB1_45
; %bb.41:                               ;   in Loop: Header=BB1_33 Depth=2
	v_mov_b32_e32 v18, 0
	v_mov_b32_e32 v19, 0
	s_cmp_eq_u32 s5, 0
	s_cbranch_scc1 .LBB1_44
; %bb.42:                               ;   in Loop: Header=BB1_33 Depth=2
	s_mov_b64 s[18:19], 0
	s_mov_b64 s[20:21], 0
.LBB1_43:                               ;   Parent Loop BB1_3 Depth=1
                                        ;     Parent Loop BB1_33 Depth=2
                                        ; =>    This Inner Loop Header: Depth=3
	s_add_u32 s26, s0, s20
	s_addc_u32 s27, s1, s21
	s_add_u32 s20, s20, 1
	global_load_ubyte v0, v1, s[26:27]
	s_addc_u32 s21, s21, 0
	s_waitcnt vmcnt(0)
	v_and_b32_e32 v0, 0xffff, v0
	v_lshlrev_b64 v[5:6], s18, v[0:1]
	s_add_u32 s18, s18, 8
	s_addc_u32 s19, s19, 0
	s_cmp_lg_u32 s5, s20
	v_or_b32_e32 v18, v5, v18
	v_or_b32_e32 v19, v6, v19
	s_cbranch_scc1 .LBB1_43
.LBB1_44:                               ;   in Loop: Header=BB1_33 Depth=2
	s_mov_b64 s[18:19], s[0:1]
	s_mov_b32 s26, 0
	s_cbranch_execz .LBB1_46
	s_branch .LBB1_47
.LBB1_45:                               ;   in Loop: Header=BB1_33 Depth=2
                                        ; implicit-def: $vgpr18_vgpr19
	s_mov_b32 s26, 0
.LBB1_46:                               ;   in Loop: Header=BB1_33 Depth=2
	global_load_dwordx2 v[18:19], v1, s[0:1]
	s_add_i32 s26, s5, -8
.LBB1_47:                               ;   in Loop: Header=BB1_33 Depth=2
	s_add_u32 s0, s18, 8
	s_addc_u32 s1, s19, 0
	s_cmp_gt_u32 s26, 7
	s_cbranch_scc1 .LBB1_52
; %bb.48:                               ;   in Loop: Header=BB1_33 Depth=2
	v_mov_b32_e32 v20, 0
	v_mov_b32_e32 v21, 0
	s_cmp_eq_u32 s26, 0
	s_cbranch_scc1 .LBB1_51
; %bb.49:                               ;   in Loop: Header=BB1_33 Depth=2
	s_mov_b64 s[0:1], 0
	s_mov_b64 s[20:21], 0
.LBB1_50:                               ;   Parent Loop BB1_3 Depth=1
                                        ;     Parent Loop BB1_33 Depth=2
                                        ; =>    This Inner Loop Header: Depth=3
	s_add_u32 s28, s18, s20
	s_addc_u32 s29, s19, s21
	s_add_u32 s20, s20, 1
	global_load_ubyte v0, v1, s[28:29]
	s_addc_u32 s21, s21, 0
	s_waitcnt vmcnt(0)
	v_and_b32_e32 v0, 0xffff, v0
	v_lshlrev_b64 v[5:6], s0, v[0:1]
	s_add_u32 s0, s0, 8
	s_addc_u32 s1, s1, 0
	s_cmp_lg_u32 s26, s20
	v_or_b32_e32 v20, v5, v20
	v_or_b32_e32 v21, v6, v21
	s_cbranch_scc1 .LBB1_50
.LBB1_51:                               ;   in Loop: Header=BB1_33 Depth=2
	s_mov_b64 s[0:1], s[18:19]
	s_mov_b32 s5, 0
	s_cbranch_execz .LBB1_53
	s_branch .LBB1_54
.LBB1_52:                               ;   in Loop: Header=BB1_33 Depth=2
	s_mov_b32 s5, 0
.LBB1_53:                               ;   in Loop: Header=BB1_33 Depth=2
	global_load_dwordx2 v[20:21], v1, s[18:19]
	s_add_i32 s5, s26, -8
.LBB1_54:                               ;   in Loop: Header=BB1_33 Depth=2
	s_add_u32 s18, s0, 8
	s_addc_u32 s19, s1, 0
	s_cmp_gt_u32 s5, 7
	s_cbranch_scc1 .LBB1_59
; %bb.55:                               ;   in Loop: Header=BB1_33 Depth=2
	v_mov_b32_e32 v22, 0
	v_mov_b32_e32 v23, 0
	s_cmp_eq_u32 s5, 0
	s_cbranch_scc1 .LBB1_58
; %bb.56:                               ;   in Loop: Header=BB1_33 Depth=2
	s_mov_b64 s[18:19], 0
	s_mov_b64 s[20:21], 0
.LBB1_57:                               ;   Parent Loop BB1_3 Depth=1
                                        ;     Parent Loop BB1_33 Depth=2
                                        ; =>    This Inner Loop Header: Depth=3
	s_add_u32 s26, s0, s20
	s_addc_u32 s27, s1, s21
	s_add_u32 s20, s20, 1
	global_load_ubyte v0, v1, s[26:27]
	s_addc_u32 s21, s21, 0
	s_waitcnt vmcnt(0)
	v_and_b32_e32 v0, 0xffff, v0
	v_lshlrev_b64 v[5:6], s18, v[0:1]
	s_add_u32 s18, s18, 8
	s_addc_u32 s19, s19, 0
	s_cmp_lg_u32 s5, s20
	v_or_b32_e32 v22, v5, v22
	v_or_b32_e32 v23, v6, v23
	s_cbranch_scc1 .LBB1_57
.LBB1_58:                               ;   in Loop: Header=BB1_33 Depth=2
	s_mov_b64 s[18:19], s[0:1]
	s_mov_b32 s26, 0
	s_cbranch_execz .LBB1_60
	s_branch .LBB1_61
.LBB1_59:                               ;   in Loop: Header=BB1_33 Depth=2
                                        ; implicit-def: $vgpr22_vgpr23
	s_mov_b32 s26, 0
.LBB1_60:                               ;   in Loop: Header=BB1_33 Depth=2
	global_load_dwordx2 v[22:23], v1, s[0:1]
	s_add_i32 s26, s5, -8
.LBB1_61:                               ;   in Loop: Header=BB1_33 Depth=2
	s_add_u32 s0, s18, 8
	s_addc_u32 s1, s19, 0
	s_cmp_gt_u32 s26, 7
	s_cbranch_scc1 .LBB1_66
; %bb.62:                               ;   in Loop: Header=BB1_33 Depth=2
	v_mov_b32_e32 v24, 0
	v_mov_b32_e32 v25, 0
	s_cmp_eq_u32 s26, 0
	s_cbranch_scc1 .LBB1_65
; %bb.63:                               ;   in Loop: Header=BB1_33 Depth=2
	s_mov_b64 s[0:1], 0
	s_mov_b64 s[20:21], 0
.LBB1_64:                               ;   Parent Loop BB1_3 Depth=1
                                        ;     Parent Loop BB1_33 Depth=2
                                        ; =>    This Inner Loop Header: Depth=3
	s_add_u32 s28, s18, s20
	s_addc_u32 s29, s19, s21
	s_add_u32 s20, s20, 1
	global_load_ubyte v0, v1, s[28:29]
	s_addc_u32 s21, s21, 0
	s_waitcnt vmcnt(0)
	v_and_b32_e32 v0, 0xffff, v0
	v_lshlrev_b64 v[5:6], s0, v[0:1]
	s_add_u32 s0, s0, 8
	s_addc_u32 s1, s1, 0
	s_cmp_lg_u32 s26, s20
	v_or_b32_e32 v24, v5, v24
	v_or_b32_e32 v25, v6, v25
	s_cbranch_scc1 .LBB1_64
.LBB1_65:                               ;   in Loop: Header=BB1_33 Depth=2
	s_mov_b64 s[0:1], s[18:19]
	s_mov_b32 s5, 0
	s_cbranch_execz .LBB1_67
	s_branch .LBB1_68
.LBB1_66:                               ;   in Loop: Header=BB1_33 Depth=2
	s_mov_b32 s5, 0
.LBB1_67:                               ;   in Loop: Header=BB1_33 Depth=2
	global_load_dwordx2 v[24:25], v1, s[18:19]
	s_add_i32 s5, s26, -8
.LBB1_68:                               ;   in Loop: Header=BB1_33 Depth=2
	s_add_u32 s18, s0, 8
	s_addc_u32 s19, s1, 0
	s_cmp_gt_u32 s5, 7
	s_cbranch_scc1 .LBB1_73
; %bb.69:                               ;   in Loop: Header=BB1_33 Depth=2
	v_mov_b32_e32 v26, 0
	v_mov_b32_e32 v27, 0
	s_cmp_eq_u32 s5, 0
	s_cbranch_scc1 .LBB1_72
; %bb.70:                               ;   in Loop: Header=BB1_33 Depth=2
	s_mov_b64 s[18:19], 0
	s_mov_b64 s[20:21], 0
.LBB1_71:                               ;   Parent Loop BB1_3 Depth=1
                                        ;     Parent Loop BB1_33 Depth=2
                                        ; =>    This Inner Loop Header: Depth=3
	s_add_u32 s26, s0, s20
	s_addc_u32 s27, s1, s21
	s_add_u32 s20, s20, 1
	global_load_ubyte v0, v1, s[26:27]
	s_addc_u32 s21, s21, 0
	s_waitcnt vmcnt(0)
	v_and_b32_e32 v0, 0xffff, v0
	v_lshlrev_b64 v[5:6], s18, v[0:1]
	s_add_u32 s18, s18, 8
	s_addc_u32 s19, s19, 0
	s_cmp_lg_u32 s5, s20
	v_or_b32_e32 v26, v5, v26
	v_or_b32_e32 v27, v6, v27
	s_cbranch_scc1 .LBB1_71
.LBB1_72:                               ;   in Loop: Header=BB1_33 Depth=2
	s_mov_b64 s[18:19], s[0:1]
	s_mov_b32 s26, 0
	s_cbranch_execz .LBB1_74
	s_branch .LBB1_75
.LBB1_73:                               ;   in Loop: Header=BB1_33 Depth=2
                                        ; implicit-def: $vgpr26_vgpr27
	s_mov_b32 s26, 0
.LBB1_74:                               ;   in Loop: Header=BB1_33 Depth=2
	global_load_dwordx2 v[26:27], v1, s[0:1]
	s_add_i32 s26, s5, -8
.LBB1_75:                               ;   in Loop: Header=BB1_33 Depth=2
	s_cmp_gt_u32 s26, 7
	s_cbranch_scc1 .LBB1_80
; %bb.76:                               ;   in Loop: Header=BB1_33 Depth=2
	v_mov_b32_e32 v28, 0
	v_mov_b32_e32 v29, 0
	s_cmp_eq_u32 s26, 0
	s_cbranch_scc1 .LBB1_79
; %bb.77:                               ;   in Loop: Header=BB1_33 Depth=2
	s_mov_b64 s[0:1], 0
	s_mov_b64 s[20:21], s[18:19]
.LBB1_78:                               ;   Parent Loop BB1_3 Depth=1
                                        ;     Parent Loop BB1_33 Depth=2
                                        ; =>    This Inner Loop Header: Depth=3
	global_load_ubyte v0, v1, s[20:21]
	s_add_i32 s26, s26, -1
	s_waitcnt vmcnt(0)
	v_and_b32_e32 v0, 0xffff, v0
	v_lshlrev_b64 v[5:6], s0, v[0:1]
	s_add_u32 s0, s0, 8
	s_addc_u32 s1, s1, 0
	s_add_u32 s20, s20, 1
	s_addc_u32 s21, s21, 0
	s_cmp_lg_u32 s26, 0
	v_or_b32_e32 v28, v5, v28
	v_or_b32_e32 v29, v6, v29
	s_cbranch_scc1 .LBB1_78
.LBB1_79:                               ;   in Loop: Header=BB1_33 Depth=2
	s_cbranch_execz .LBB1_81
	s_branch .LBB1_82
.LBB1_80:                               ;   in Loop: Header=BB1_33 Depth=2
.LBB1_81:                               ;   in Loop: Header=BB1_33 Depth=2
	global_load_dwordx2 v[28:29], v1, s[18:19]
.LBB1_82:                               ;   in Loop: Header=BB1_33 Depth=2
	v_readfirstlane_b32 s0, v36
	v_mov_b32_e32 v5, 0
	v_mov_b32_e32 v6, 0
	v_cmp_eq_u32_e64 s0, s0, v36
	s_and_saveexec_b32 s1, s0
	s_cbranch_execz .LBB1_88
; %bb.83:                               ;   in Loop: Header=BB1_33 Depth=2
	global_load_dwordx2 v[32:33], v1, s[12:13] offset:24 glc dlc
	s_waitcnt vmcnt(0)
	buffer_gl1_inv
	buffer_gl0_inv
	s_clause 0x1
	global_load_dwordx2 v[5:6], v1, s[12:13] offset:40
	global_load_dwordx2 v[9:10], v1, s[12:13]
	s_mov_b32 s5, exec_lo
	s_waitcnt vmcnt(1)
	v_and_b32_e32 v0, v6, v33
	v_and_b32_e32 v5, v5, v32
	v_mul_lo_u32 v0, v0, 24
	v_mul_hi_u32 v6, v5, 24
	v_mul_lo_u32 v5, v5, 24
	v_add_nc_u32_e32 v0, v6, v0
	s_waitcnt vmcnt(0)
	v_add_co_u32 v5, vcc_lo, v9, v5
	v_add_co_ci_u32_e64 v6, null, v10, v0, vcc_lo
	global_load_dwordx2 v[30:31], v[5:6], off glc dlc
	s_waitcnt vmcnt(0)
	global_atomic_cmpswap_x2 v[5:6], v1, v[30:33], s[12:13] offset:24 glc
	s_waitcnt vmcnt(0)
	buffer_gl1_inv
	buffer_gl0_inv
	v_cmpx_ne_u64_e64 v[5:6], v[32:33]
	s_cbranch_execz .LBB1_87
; %bb.84:                               ;   in Loop: Header=BB1_33 Depth=2
	s_mov_b32 s18, 0
	.p2align	6
.LBB1_85:                               ;   Parent Loop BB1_3 Depth=1
                                        ;     Parent Loop BB1_33 Depth=2
                                        ; =>    This Inner Loop Header: Depth=3
	s_sleep 1
	s_clause 0x1
	global_load_dwordx2 v[9:10], v1, s[12:13] offset:40
	global_load_dwordx2 v[30:31], v1, s[12:13]
	v_mov_b32_e32 v33, v6
	v_mov_b32_e32 v32, v5
	s_waitcnt vmcnt(1)
	v_and_b32_e32 v0, v9, v32
	v_and_b32_e32 v9, v10, v33
	s_waitcnt vmcnt(0)
	v_mad_u64_u32 v[5:6], null, v0, 24, v[30:31]
	v_mov_b32_e32 v0, v6
	v_mad_u64_u32 v[9:10], null, v9, 24, v[0:1]
	v_mov_b32_e32 v6, v9
	global_load_dwordx2 v[30:31], v[5:6], off glc dlc
	s_waitcnt vmcnt(0)
	global_atomic_cmpswap_x2 v[5:6], v1, v[30:33], s[12:13] offset:24 glc
	s_waitcnt vmcnt(0)
	buffer_gl1_inv
	buffer_gl0_inv
	v_cmp_eq_u64_e32 vcc_lo, v[5:6], v[32:33]
	s_or_b32 s18, vcc_lo, s18
	s_andn2_b32 exec_lo, exec_lo, s18
	s_cbranch_execnz .LBB1_85
; %bb.86:                               ;   in Loop: Header=BB1_33 Depth=2
	s_or_b32 exec_lo, exec_lo, s18
.LBB1_87:                               ;   in Loop: Header=BB1_33 Depth=2
	s_or_b32 exec_lo, exec_lo, s5
.LBB1_88:                               ;   in Loop: Header=BB1_33 Depth=2
	s_or_b32 exec_lo, exec_lo, s1
	s_clause 0x1
	global_load_dwordx2 v[9:10], v1, s[12:13] offset:40
	global_load_dwordx4 v[30:33], v1, s[12:13]
	v_readfirstlane_b32 s19, v6
	v_readfirstlane_b32 s18, v5
	s_mov_b32 s1, exec_lo
	s_waitcnt vmcnt(1)
	v_readfirstlane_b32 s20, v9
	v_readfirstlane_b32 s21, v10
	s_and_b64 s[20:21], s[20:21], s[18:19]
	s_mul_i32 s5, s21, 24
	s_mul_hi_u32 s26, s20, 24
	s_mul_i32 s27, s20, 24
	s_add_i32 s26, s26, s5
	s_waitcnt vmcnt(0)
	v_add_co_u32 v5, vcc_lo, v30, s27
	v_add_co_ci_u32_e64 v6, null, s26, v31, vcc_lo
	s_and_saveexec_b32 s5, s0
	s_cbranch_execz .LBB1_90
; %bb.89:                               ;   in Loop: Header=BB1_33 Depth=2
	v_mov_b32_e32 v0, s1
	global_store_dwordx4 v[5:6], v[0:3], off offset:8
.LBB1_90:                               ;   in Loop: Header=BB1_33 Depth=2
	s_or_b32 exec_lo, exec_lo, s5
	v_cmp_lt_u64_e64 vcc_lo, s[14:15], 57
	s_lshl_b64 s[20:21], s[20:21], 12
	v_and_b32_e32 v9, 0xffffff1f, v14
	s_lshl_b32 s1, s16, 2
	s_add_i32 s1, s1, 28
	v_cndmask_b32_e32 v0, 0, v7, vcc_lo
	v_add_co_u32 v32, vcc_lo, v32, s20
	v_add_co_ci_u32_e64 v33, null, s21, v33, vcc_lo
	v_or_b32_e32 v0, v9, v0
	v_readfirstlane_b32 s20, v32
	v_readfirstlane_b32 s21, v33
	v_and_or_b32 v14, 0x1e0, s1, v0
	global_store_dwordx4 v37, v[18:21], s[20:21] offset:16
	global_store_dwordx4 v37, v[14:17], s[20:21]
	global_store_dwordx4 v37, v[22:25], s[20:21] offset:32
	global_store_dwordx4 v37, v[26:29], s[20:21] offset:48
	s_and_saveexec_b32 s1, s0
	s_cbranch_execz .LBB1_98
; %bb.91:                               ;   in Loop: Header=BB1_33 Depth=2
	s_clause 0x1
	global_load_dwordx2 v[18:19], v1, s[12:13] offset:32 glc dlc
	global_load_dwordx2 v[9:10], v1, s[12:13] offset:40
	v_mov_b32_e32 v16, s18
	v_mov_b32_e32 v17, s19
	s_waitcnt vmcnt(0)
	v_readfirstlane_b32 s20, v9
	v_readfirstlane_b32 s21, v10
	s_and_b64 s[20:21], s[20:21], s[18:19]
	s_mul_i32 s5, s21, 24
	s_mul_hi_u32 s21, s20, 24
	s_mul_i32 s20, s20, 24
	s_add_i32 s21, s21, s5
	v_add_co_u32 v9, vcc_lo, v30, s20
	v_add_co_ci_u32_e64 v10, null, s21, v31, vcc_lo
	s_mov_b32 s5, exec_lo
	global_store_dwordx2 v[9:10], v[18:19], off
	s_waitcnt_vscnt null, 0x0
	global_atomic_cmpswap_x2 v[16:17], v1, v[16:19], s[12:13] offset:32 glc
	s_waitcnt vmcnt(0)
	v_cmpx_ne_u64_e64 v[16:17], v[18:19]
	s_cbranch_execz .LBB1_94
; %bb.92:                               ;   in Loop: Header=BB1_33 Depth=2
	s_mov_b32 s20, 0
.LBB1_93:                               ;   Parent Loop BB1_3 Depth=1
                                        ;     Parent Loop BB1_33 Depth=2
                                        ; =>    This Inner Loop Header: Depth=3
	v_mov_b32_e32 v14, s18
	v_mov_b32_e32 v15, s19
	s_sleep 1
	global_store_dwordx2 v[9:10], v[16:17], off
	s_waitcnt_vscnt null, 0x0
	global_atomic_cmpswap_x2 v[14:15], v1, v[14:17], s[12:13] offset:32 glc
	s_waitcnt vmcnt(0)
	v_cmp_eq_u64_e32 vcc_lo, v[14:15], v[16:17]
	v_mov_b32_e32 v17, v15
	v_mov_b32_e32 v16, v14
	s_or_b32 s20, vcc_lo, s20
	s_andn2_b32 exec_lo, exec_lo, s20
	s_cbranch_execnz .LBB1_93
.LBB1_94:                               ;   in Loop: Header=BB1_33 Depth=2
	s_or_b32 exec_lo, exec_lo, s5
	global_load_dwordx2 v[9:10], v1, s[12:13] offset:16
	s_mov_b32 s20, exec_lo
	s_mov_b32 s5, exec_lo
	v_mbcnt_lo_u32_b32 v0, s20, 0
	v_cmpx_eq_u32_e32 0, v0
	s_cbranch_execz .LBB1_96
; %bb.95:                               ;   in Loop: Header=BB1_33 Depth=2
	s_bcnt1_i32_b32 s20, s20
	v_mov_b32_e32 v0, s20
	s_waitcnt vmcnt(0)
	global_atomic_add_x2 v[9:10], v[0:1], off offset:8
.LBB1_96:                               ;   in Loop: Header=BB1_33 Depth=2
	s_or_b32 exec_lo, exec_lo, s5
	s_waitcnt vmcnt(0)
	global_load_dwordx2 v[14:15], v[9:10], off offset:16
	s_waitcnt vmcnt(0)
	v_cmp_eq_u64_e32 vcc_lo, 0, v[14:15]
	s_cbranch_vccnz .LBB1_98
; %bb.97:                               ;   in Loop: Header=BB1_33 Depth=2
	global_load_dword v0, v[9:10], off offset:24
	s_waitcnt vmcnt(0)
	v_readfirstlane_b32 s5, v0
	s_waitcnt_vscnt null, 0x0
	global_store_dwordx2 v[14:15], v[0:1], off
	s_and_b32 m0, s5, 0x7fffff
	s_sendmsg sendmsg(MSG_INTERRUPT)
.LBB1_98:                               ;   in Loop: Header=BB1_33 Depth=2
	s_or_b32 exec_lo, exec_lo, s1
	v_add_co_u32 v9, vcc_lo, v32, v37
	v_add_co_ci_u32_e64 v10, null, 0, v33, vcc_lo
	s_branch .LBB1_102
	.p2align	6
.LBB1_99:                               ;   in Loop: Header=BB1_102 Depth=3
	s_or_b32 exec_lo, exec_lo, s1
	v_readfirstlane_b32 s1, v0
	s_cmp_eq_u32 s1, 0
	s_cbranch_scc1 .LBB1_101
; %bb.100:                              ;   in Loop: Header=BB1_102 Depth=3
	s_sleep 1
	s_cbranch_execnz .LBB1_102
	s_branch .LBB1_104
	.p2align	6
.LBB1_101:                              ;   in Loop: Header=BB1_33 Depth=2
	s_branch .LBB1_104
.LBB1_102:                              ;   Parent Loop BB1_3 Depth=1
                                        ;     Parent Loop BB1_33 Depth=2
                                        ; =>    This Inner Loop Header: Depth=3
	v_mov_b32_e32 v0, 1
	s_and_saveexec_b32 s1, s0
	s_cbranch_execz .LBB1_99
; %bb.103:                              ;   in Loop: Header=BB1_102 Depth=3
	global_load_dword v0, v[5:6], off offset:20 glc dlc
	s_waitcnt vmcnt(0)
	buffer_gl1_inv
	buffer_gl0_inv
	v_and_b32_e32 v0, 1, v0
	s_branch .LBB1_99
.LBB1_104:                              ;   in Loop: Header=BB1_33 Depth=2
	global_load_dwordx2 v[14:15], v[9:10], off
	s_and_saveexec_b32 s5, s0
	s_cbranch_execz .LBB1_32
; %bb.105:                              ;   in Loop: Header=BB1_33 Depth=2
	s_clause 0x2
	global_load_dwordx2 v[5:6], v1, s[12:13] offset:40
	global_load_dwordx2 v[20:21], v1, s[12:13] offset:24 glc dlc
	global_load_dwordx2 v[9:10], v1, s[12:13]
	s_waitcnt vmcnt(2)
	v_readfirstlane_b32 s20, v5
	v_readfirstlane_b32 s21, v6
	s_add_u32 s26, s20, 1
	s_addc_u32 s27, s21, 0
	s_add_u32 s0, s26, s18
	s_addc_u32 s1, s27, s19
	s_cmp_eq_u64 s[0:1], 0
	s_cselect_b32 s1, s27, s1
	s_cselect_b32 s0, s26, s0
	v_mov_b32_e32 v19, s1
	s_and_b64 s[18:19], s[0:1], s[20:21]
	v_mov_b32_e32 v18, s0
	s_mul_i32 s19, s19, 24
	s_mul_hi_u32 s20, s18, 24
	s_mul_i32 s18, s18, 24
	s_add_i32 s20, s20, s19
	s_waitcnt vmcnt(0)
	v_add_co_u32 v5, vcc_lo, v9, s18
	v_add_co_ci_u32_e64 v6, null, s20, v10, vcc_lo
	global_store_dwordx2 v[5:6], v[20:21], off
	s_waitcnt_vscnt null, 0x0
	global_atomic_cmpswap_x2 v[18:19], v1, v[18:21], s[12:13] offset:24 glc
	s_waitcnt vmcnt(0)
	v_cmp_ne_u64_e32 vcc_lo, v[18:19], v[20:21]
	s_and_b32 exec_lo, exec_lo, vcc_lo
	s_cbranch_execz .LBB1_32
; %bb.106:                              ;   in Loop: Header=BB1_33 Depth=2
	s_mov_b32 s18, 0
.LBB1_107:                              ;   Parent Loop BB1_3 Depth=1
                                        ;     Parent Loop BB1_33 Depth=2
                                        ; =>    This Inner Loop Header: Depth=3
	v_mov_b32_e32 v16, s0
	v_mov_b32_e32 v17, s1
	s_sleep 1
	global_store_dwordx2 v[5:6], v[18:19], off
	s_waitcnt_vscnt null, 0x0
	global_atomic_cmpswap_x2 v[9:10], v1, v[16:19], s[12:13] offset:24 glc
	s_waitcnt vmcnt(0)
	v_cmp_eq_u64_e32 vcc_lo, v[9:10], v[18:19]
	v_mov_b32_e32 v19, v10
	v_mov_b32_e32 v18, v9
	s_or_b32 s18, vcc_lo, s18
	s_andn2_b32 exec_lo, exec_lo, s18
	s_cbranch_execnz .LBB1_107
	s_branch .LBB1_32
.LBB1_108:                              ;   in Loop: Header=BB1_3 Depth=1
	s_branch .LBB1_137
.LBB1_109:                              ;   in Loop: Header=BB1_3 Depth=1
                                        ; implicit-def: $vgpr14_vgpr15
	s_cbranch_execz .LBB1_137
; %bb.110:                              ;   in Loop: Header=BB1_3 Depth=1
	v_readfirstlane_b32 s0, v36
	v_mov_b32_e32 v5, 0
	v_mov_b32_e32 v6, 0
	v_cmp_eq_u32_e64 s0, s0, v36
	s_and_saveexec_b32 s1, s0
	s_cbranch_execz .LBB1_116
; %bb.111:                              ;   in Loop: Header=BB1_3 Depth=1
	global_load_dwordx2 v[16:17], v1, s[12:13] offset:24 glc dlc
	s_waitcnt vmcnt(0)
	buffer_gl1_inv
	buffer_gl0_inv
	s_clause 0x1
	global_load_dwordx2 v[5:6], v1, s[12:13] offset:40
	global_load_dwordx2 v[9:10], v1, s[12:13]
	s_mov_b32 s5, exec_lo
	s_waitcnt vmcnt(1)
	v_and_b32_e32 v0, v6, v17
	v_and_b32_e32 v5, v5, v16
	v_mul_lo_u32 v0, v0, 24
	v_mul_hi_u32 v6, v5, 24
	v_mul_lo_u32 v5, v5, 24
	v_add_nc_u32_e32 v0, v6, v0
	s_waitcnt vmcnt(0)
	v_add_co_u32 v5, vcc_lo, v9, v5
	v_add_co_ci_u32_e64 v6, null, v10, v0, vcc_lo
	global_load_dwordx2 v[14:15], v[5:6], off glc dlc
	s_waitcnt vmcnt(0)
	global_atomic_cmpswap_x2 v[5:6], v1, v[14:17], s[12:13] offset:24 glc
	s_waitcnt vmcnt(0)
	buffer_gl1_inv
	buffer_gl0_inv
	v_cmpx_ne_u64_e64 v[5:6], v[16:17]
	s_cbranch_execz .LBB1_115
; %bb.112:                              ;   in Loop: Header=BB1_3 Depth=1
	s_mov_b32 s6, 0
	.p2align	6
.LBB1_113:                              ;   Parent Loop BB1_3 Depth=1
                                        ; =>  This Inner Loop Header: Depth=2
	s_sleep 1
	s_clause 0x1
	global_load_dwordx2 v[9:10], v1, s[12:13] offset:40
	global_load_dwordx2 v[14:15], v1, s[12:13]
	v_mov_b32_e32 v17, v6
	v_mov_b32_e32 v16, v5
	s_waitcnt vmcnt(1)
	v_and_b32_e32 v0, v9, v16
	v_and_b32_e32 v7, v10, v17
	s_waitcnt vmcnt(0)
	v_mad_u64_u32 v[5:6], null, v0, 24, v[14:15]
	v_mov_b32_e32 v0, v6
	v_mad_u64_u32 v[6:7], null, v7, 24, v[0:1]
	global_load_dwordx2 v[14:15], v[5:6], off glc dlc
	s_waitcnt vmcnt(0)
	global_atomic_cmpswap_x2 v[5:6], v1, v[14:17], s[12:13] offset:24 glc
	s_waitcnt vmcnt(0)
	buffer_gl1_inv
	buffer_gl0_inv
	v_cmp_eq_u64_e32 vcc_lo, v[5:6], v[16:17]
	s_or_b32 s6, vcc_lo, s6
	s_andn2_b32 exec_lo, exec_lo, s6
	s_cbranch_execnz .LBB1_113
; %bb.114:                              ;   in Loop: Header=BB1_3 Depth=1
	s_or_b32 exec_lo, exec_lo, s6
.LBB1_115:                              ;   in Loop: Header=BB1_3 Depth=1
	s_or_b32 exec_lo, exec_lo, s5
.LBB1_116:                              ;   in Loop: Header=BB1_3 Depth=1
	s_or_b32 exec_lo, exec_lo, s1
	s_clause 0x1
	global_load_dwordx2 v[9:10], v1, s[12:13] offset:40
	global_load_dwordx4 v[16:19], v1, s[12:13]
	v_readfirstlane_b32 s15, v6
	v_readfirstlane_b32 s14, v5
	s_mov_b32 s1, exec_lo
	s_waitcnt vmcnt(1)
	v_readfirstlane_b32 s6, v9
	v_readfirstlane_b32 s7, v10
	s_and_b64 s[6:7], s[6:7], s[14:15]
	s_mul_i32 s5, s7, 24
	s_mul_hi_u32 s16, s6, 24
	s_mul_i32 s17, s6, 24
	s_add_i32 s16, s16, s5
	s_waitcnt vmcnt(0)
	v_add_co_u32 v5, vcc_lo, v16, s17
	v_add_co_ci_u32_e64 v6, null, s16, v17, vcc_lo
	s_and_saveexec_b32 s5, s0
	s_cbranch_execz .LBB1_118
; %bb.117:                              ;   in Loop: Header=BB1_3 Depth=1
	v_mov_b32_e32 v0, s1
	global_store_dwordx4 v[5:6], v[0:3], off offset:8
.LBB1_118:                              ;   in Loop: Header=BB1_3 Depth=1
	s_or_b32 exec_lo, exec_lo, s5
	s_lshl_b64 s[6:7], s[6:7], 12
	s_mov_b32 s5, s4
	v_add_co_u32 v7, vcc_lo, v18, s6
	v_add_co_ci_u32_e64 v18, null, s7, v19, vcc_lo
	s_mov_b32 s7, s4
	s_mov_b32 s6, s4
	v_and_or_b32 v12, 0xffffff1f, v12, 32
	v_mov_b32_e32 v14, v1
	v_mov_b32_e32 v15, v1
	v_readfirstlane_b32 s16, v7
	v_readfirstlane_b32 s17, v18
	v_mov_b32_e32 v22, s7
	v_mov_b32_e32 v21, s6
	;; [unrolled: 1-line block ×4, first 2 shown]
	global_store_dwordx4 v37, v[12:15], s[16:17]
	global_store_dwordx4 v37, v[19:22], s[16:17] offset:16
	global_store_dwordx4 v37, v[19:22], s[16:17] offset:32
	;; [unrolled: 1-line block ×3, first 2 shown]
	s_and_saveexec_b32 s1, s0
	s_cbranch_execz .LBB1_126
; %bb.119:                              ;   in Loop: Header=BB1_3 Depth=1
	s_clause 0x1
	global_load_dwordx2 v[21:22], v1, s[12:13] offset:32 glc dlc
	global_load_dwordx2 v[9:10], v1, s[12:13] offset:40
	v_mov_b32_e32 v19, s14
	v_mov_b32_e32 v20, s15
	s_waitcnt vmcnt(0)
	v_readfirstlane_b32 s6, v9
	v_readfirstlane_b32 s7, v10
	s_and_b64 s[6:7], s[6:7], s[14:15]
	s_mul_i32 s5, s7, 24
	s_mul_hi_u32 s7, s6, 24
	s_mul_i32 s6, s6, 24
	s_add_i32 s7, s7, s5
	v_add_co_u32 v9, vcc_lo, v16, s6
	v_add_co_ci_u32_e64 v10, null, s7, v17, vcc_lo
	s_mov_b32 s5, exec_lo
	global_store_dwordx2 v[9:10], v[21:22], off
	s_waitcnt_vscnt null, 0x0
	global_atomic_cmpswap_x2 v[14:15], v1, v[19:22], s[12:13] offset:32 glc
	s_waitcnt vmcnt(0)
	v_cmpx_ne_u64_e64 v[14:15], v[21:22]
	s_cbranch_execz .LBB1_122
; %bb.120:                              ;   in Loop: Header=BB1_3 Depth=1
	s_mov_b32 s6, 0
.LBB1_121:                              ;   Parent Loop BB1_3 Depth=1
                                        ; =>  This Inner Loop Header: Depth=2
	v_mov_b32_e32 v12, s14
	v_mov_b32_e32 v13, s15
	s_sleep 1
	global_store_dwordx2 v[9:10], v[14:15], off
	s_waitcnt_vscnt null, 0x0
	global_atomic_cmpswap_x2 v[12:13], v1, v[12:15], s[12:13] offset:32 glc
	s_waitcnt vmcnt(0)
	v_cmp_eq_u64_e32 vcc_lo, v[12:13], v[14:15]
	v_mov_b32_e32 v15, v13
	v_mov_b32_e32 v14, v12
	s_or_b32 s6, vcc_lo, s6
	s_andn2_b32 exec_lo, exec_lo, s6
	s_cbranch_execnz .LBB1_121
.LBB1_122:                              ;   in Loop: Header=BB1_3 Depth=1
	s_or_b32 exec_lo, exec_lo, s5
	global_load_dwordx2 v[9:10], v1, s[12:13] offset:16
	s_mov_b32 s6, exec_lo
	s_mov_b32 s5, exec_lo
	v_mbcnt_lo_u32_b32 v0, s6, 0
	v_cmpx_eq_u32_e32 0, v0
	s_cbranch_execz .LBB1_124
; %bb.123:                              ;   in Loop: Header=BB1_3 Depth=1
	s_bcnt1_i32_b32 s6, s6
	v_mov_b32_e32 v0, s6
	s_waitcnt vmcnt(0)
	global_atomic_add_x2 v[9:10], v[0:1], off offset:8
.LBB1_124:                              ;   in Loop: Header=BB1_3 Depth=1
	s_or_b32 exec_lo, exec_lo, s5
	s_waitcnt vmcnt(0)
	global_load_dwordx2 v[12:13], v[9:10], off offset:16
	s_waitcnt vmcnt(0)
	v_cmp_eq_u64_e32 vcc_lo, 0, v[12:13]
	s_cbranch_vccnz .LBB1_126
; %bb.125:                              ;   in Loop: Header=BB1_3 Depth=1
	global_load_dword v0, v[9:10], off offset:24
	s_waitcnt vmcnt(0)
	v_readfirstlane_b32 s5, v0
	s_waitcnt_vscnt null, 0x0
	global_store_dwordx2 v[12:13], v[0:1], off
	s_and_b32 m0, s5, 0x7fffff
	s_sendmsg sendmsg(MSG_INTERRUPT)
.LBB1_126:                              ;   in Loop: Header=BB1_3 Depth=1
	s_or_b32 exec_lo, exec_lo, s1
	v_add_co_u32 v9, vcc_lo, v7, v37
	v_add_co_ci_u32_e64 v10, null, 0, v18, vcc_lo
	s_branch .LBB1_130
	.p2align	6
.LBB1_127:                              ;   in Loop: Header=BB1_130 Depth=2
	s_or_b32 exec_lo, exec_lo, s1
	v_readfirstlane_b32 s1, v0
	s_cmp_eq_u32 s1, 0
	s_cbranch_scc1 .LBB1_129
; %bb.128:                              ;   in Loop: Header=BB1_130 Depth=2
	s_sleep 1
	s_cbranch_execnz .LBB1_130
	s_branch .LBB1_132
	.p2align	6
.LBB1_129:                              ;   in Loop: Header=BB1_3 Depth=1
	s_branch .LBB1_132
.LBB1_130:                              ;   Parent Loop BB1_3 Depth=1
                                        ; =>  This Inner Loop Header: Depth=2
	v_mov_b32_e32 v0, 1
	s_and_saveexec_b32 s1, s0
	s_cbranch_execz .LBB1_127
; %bb.131:                              ;   in Loop: Header=BB1_130 Depth=2
	global_load_dword v0, v[5:6], off offset:20 glc dlc
	s_waitcnt vmcnt(0)
	buffer_gl1_inv
	buffer_gl0_inv
	v_and_b32_e32 v0, 1, v0
	s_branch .LBB1_127
.LBB1_132:                              ;   in Loop: Header=BB1_3 Depth=1
	global_load_dwordx2 v[14:15], v[9:10], off
	s_and_saveexec_b32 s5, s0
	s_cbranch_execz .LBB1_136
; %bb.133:                              ;   in Loop: Header=BB1_3 Depth=1
	s_clause 0x2
	global_load_dwordx2 v[5:6], v1, s[12:13] offset:40
	global_load_dwordx2 v[20:21], v1, s[12:13] offset:24 glc dlc
	global_load_dwordx2 v[9:10], v1, s[12:13]
	s_waitcnt vmcnt(2)
	v_readfirstlane_b32 s6, v5
	v_readfirstlane_b32 s7, v6
	s_add_u32 s16, s6, 1
	s_addc_u32 s17, s7, 0
	s_add_u32 s0, s16, s14
	s_addc_u32 s1, s17, s15
	s_cmp_eq_u64 s[0:1], 0
	s_cselect_b32 s1, s17, s1
	s_cselect_b32 s0, s16, s0
	v_mov_b32_e32 v19, s1
	s_and_b64 s[6:7], s[0:1], s[6:7]
	v_mov_b32_e32 v18, s0
	s_mul_i32 s7, s7, 24
	s_mul_hi_u32 s14, s6, 24
	s_mul_i32 s6, s6, 24
	s_add_i32 s14, s14, s7
	s_waitcnt vmcnt(0)
	v_add_co_u32 v5, vcc_lo, v9, s6
	v_add_co_ci_u32_e64 v6, null, s14, v10, vcc_lo
	global_store_dwordx2 v[5:6], v[20:21], off
	s_waitcnt_vscnt null, 0x0
	global_atomic_cmpswap_x2 v[18:19], v1, v[18:21], s[12:13] offset:24 glc
	s_waitcnt vmcnt(0)
	v_cmp_ne_u64_e32 vcc_lo, v[18:19], v[20:21]
	s_and_b32 exec_lo, exec_lo, vcc_lo
	s_cbranch_execz .LBB1_136
; %bb.134:                              ;   in Loop: Header=BB1_3 Depth=1
	s_mov_b32 s6, 0
.LBB1_135:                              ;   Parent Loop BB1_3 Depth=1
                                        ; =>  This Inner Loop Header: Depth=2
	v_mov_b32_e32 v16, s0
	v_mov_b32_e32 v17, s1
	s_sleep 1
	global_store_dwordx2 v[5:6], v[18:19], off
	s_waitcnt_vscnt null, 0x0
	global_atomic_cmpswap_x2 v[9:10], v1, v[16:19], s[12:13] offset:24 glc
	s_waitcnt vmcnt(0)
	v_cmp_eq_u64_e32 vcc_lo, v[9:10], v[18:19]
	v_mov_b32_e32 v19, v10
	v_mov_b32_e32 v18, v9
	s_or_b32 s6, vcc_lo, s6
	s_andn2_b32 exec_lo, exec_lo, s6
	s_cbranch_execnz .LBB1_135
.LBB1_136:                              ;   in Loop: Header=BB1_3 Depth=1
	s_or_b32 exec_lo, exec_lo, s5
.LBB1_137:                              ;   in Loop: Header=BB1_3 Depth=1
	v_readfirstlane_b32 s0, v36
	v_mov_b32_e32 v5, 0
	v_mov_b32_e32 v6, 0
	v_cmp_eq_u32_e64 s0, s0, v36
	s_and_saveexec_b32 s1, s0
	s_cbranch_execz .LBB1_143
; %bb.138:                              ;   in Loop: Header=BB1_3 Depth=1
	global_load_dwordx2 v[18:19], v1, s[12:13] offset:24 glc dlc
	s_waitcnt vmcnt(0)
	buffer_gl1_inv
	buffer_gl0_inv
	s_clause 0x1
	global_load_dwordx2 v[5:6], v1, s[12:13] offset:40
	global_load_dwordx2 v[9:10], v1, s[12:13]
	s_mov_b32 s5, exec_lo
	s_waitcnt vmcnt(1)
	v_and_b32_e32 v0, v6, v19
	v_and_b32_e32 v5, v5, v18
	v_mul_lo_u32 v0, v0, 24
	v_mul_hi_u32 v6, v5, 24
	v_mul_lo_u32 v5, v5, 24
	v_add_nc_u32_e32 v0, v6, v0
	s_waitcnt vmcnt(0)
	v_add_co_u32 v5, vcc_lo, v9, v5
	v_add_co_ci_u32_e64 v6, null, v10, v0, vcc_lo
	global_load_dwordx2 v[16:17], v[5:6], off glc dlc
	s_waitcnt vmcnt(0)
	global_atomic_cmpswap_x2 v[5:6], v1, v[16:19], s[12:13] offset:24 glc
	s_waitcnt vmcnt(0)
	buffer_gl1_inv
	buffer_gl0_inv
	v_cmpx_ne_u64_e64 v[5:6], v[18:19]
	s_cbranch_execz .LBB1_142
; %bb.139:                              ;   in Loop: Header=BB1_3 Depth=1
	s_mov_b32 s6, 0
	.p2align	6
.LBB1_140:                              ;   Parent Loop BB1_3 Depth=1
                                        ; =>  This Inner Loop Header: Depth=2
	s_sleep 1
	s_clause 0x1
	global_load_dwordx2 v[9:10], v1, s[12:13] offset:40
	global_load_dwordx2 v[12:13], v1, s[12:13]
	v_mov_b32_e32 v19, v6
	v_mov_b32_e32 v18, v5
	s_waitcnt vmcnt(1)
	v_and_b32_e32 v0, v9, v18
	v_and_b32_e32 v7, v10, v19
	s_waitcnt vmcnt(0)
	v_mad_u64_u32 v[5:6], null, v0, 24, v[12:13]
	v_mov_b32_e32 v0, v6
	v_mad_u64_u32 v[6:7], null, v7, 24, v[0:1]
	global_load_dwordx2 v[16:17], v[5:6], off glc dlc
	s_waitcnt vmcnt(0)
	global_atomic_cmpswap_x2 v[5:6], v1, v[16:19], s[12:13] offset:24 glc
	s_waitcnt vmcnt(0)
	buffer_gl1_inv
	buffer_gl0_inv
	v_cmp_eq_u64_e32 vcc_lo, v[5:6], v[18:19]
	s_or_b32 s6, vcc_lo, s6
	s_andn2_b32 exec_lo, exec_lo, s6
	s_cbranch_execnz .LBB1_140
; %bb.141:                              ;   in Loop: Header=BB1_3 Depth=1
	s_or_b32 exec_lo, exec_lo, s6
.LBB1_142:                              ;   in Loop: Header=BB1_3 Depth=1
	s_or_b32 exec_lo, exec_lo, s5
.LBB1_143:                              ;   in Loop: Header=BB1_3 Depth=1
	s_or_b32 exec_lo, exec_lo, s1
	s_clause 0x1
	global_load_dwordx2 v[9:10], v1, s[12:13] offset:40
	global_load_dwordx4 v[18:21], v1, s[12:13]
	v_readfirstlane_b32 s15, v6
	v_readfirstlane_b32 s14, v5
	s_mov_b32 s1, exec_lo
	s_waitcnt vmcnt(1)
	v_readfirstlane_b32 s6, v9
	v_readfirstlane_b32 s7, v10
	s_and_b64 s[6:7], s[6:7], s[14:15]
	s_mul_i32 s5, s7, 24
	s_mul_hi_u32 s16, s6, 24
	s_mul_i32 s17, s6, 24
	s_add_i32 s16, s16, s5
	s_waitcnt vmcnt(0)
	v_add_co_u32 v5, vcc_lo, v18, s17
	v_add_co_ci_u32_e64 v6, null, s16, v19, vcc_lo
	s_and_saveexec_b32 s5, s0
	s_cbranch_execz .LBB1_145
; %bb.144:                              ;   in Loop: Header=BB1_3 Depth=1
	v_mov_b32_e32 v0, s1
	global_store_dwordx4 v[5:6], v[0:3], off offset:8
.LBB1_145:                              ;   in Loop: Header=BB1_3 Depth=1
	s_or_b32 exec_lo, exec_lo, s5
	s_lshl_b64 s[6:7], s[6:7], 12
	s_mov_b32 s5, s4
	v_add_co_u32 v7, vcc_lo, v20, s6
	v_add_co_ci_u32_e64 v20, null, s7, v21, vcc_lo
	s_mov_b32 s7, s4
	s_mov_b32 s6, s4
	v_and_or_b32 v14, 0xffffff1f, v14, 32
	v_mov_b32_e32 v16, v34
	v_mov_b32_e32 v17, v1
	v_readfirstlane_b32 s16, v7
	v_readfirstlane_b32 s17, v20
	v_mov_b32_e32 v24, s7
	v_mov_b32_e32 v23, s6
	;; [unrolled: 1-line block ×4, first 2 shown]
	global_store_dwordx4 v37, v[14:17], s[16:17]
	global_store_dwordx4 v37, v[21:24], s[16:17] offset:16
	global_store_dwordx4 v37, v[21:24], s[16:17] offset:32
	;; [unrolled: 1-line block ×3, first 2 shown]
	s_and_saveexec_b32 s1, s0
	s_cbranch_execz .LBB1_153
; %bb.146:                              ;   in Loop: Header=BB1_3 Depth=1
	s_clause 0x1
	global_load_dwordx2 v[16:17], v1, s[12:13] offset:32 glc dlc
	global_load_dwordx2 v[9:10], v1, s[12:13] offset:40
	v_mov_b32_e32 v14, s14
	v_mov_b32_e32 v15, s15
	s_waitcnt vmcnt(0)
	v_readfirstlane_b32 s6, v9
	v_readfirstlane_b32 s7, v10
	s_and_b64 s[6:7], s[6:7], s[14:15]
	s_mul_i32 s5, s7, 24
	s_mul_hi_u32 s7, s6, 24
	s_mul_i32 s6, s6, 24
	s_add_i32 s7, s7, s5
	v_add_co_u32 v9, vcc_lo, v18, s6
	v_add_co_ci_u32_e64 v10, null, s7, v19, vcc_lo
	s_mov_b32 s5, exec_lo
	global_store_dwordx2 v[9:10], v[16:17], off
	s_waitcnt_vscnt null, 0x0
	global_atomic_cmpswap_x2 v[14:15], v1, v[14:17], s[12:13] offset:32 glc
	s_waitcnt vmcnt(0)
	v_cmpx_ne_u64_e64 v[14:15], v[16:17]
	s_cbranch_execz .LBB1_149
; %bb.147:                              ;   in Loop: Header=BB1_3 Depth=1
	s_mov_b32 s6, 0
.LBB1_148:                              ;   Parent Loop BB1_3 Depth=1
                                        ; =>  This Inner Loop Header: Depth=2
	v_mov_b32_e32 v12, s14
	v_mov_b32_e32 v13, s15
	s_sleep 1
	global_store_dwordx2 v[9:10], v[14:15], off
	s_waitcnt_vscnt null, 0x0
	global_atomic_cmpswap_x2 v[12:13], v1, v[12:15], s[12:13] offset:32 glc
	s_waitcnt vmcnt(0)
	v_cmp_eq_u64_e32 vcc_lo, v[12:13], v[14:15]
	v_mov_b32_e32 v15, v13
	v_mov_b32_e32 v14, v12
	s_or_b32 s6, vcc_lo, s6
	s_andn2_b32 exec_lo, exec_lo, s6
	s_cbranch_execnz .LBB1_148
.LBB1_149:                              ;   in Loop: Header=BB1_3 Depth=1
	s_or_b32 exec_lo, exec_lo, s5
	global_load_dwordx2 v[9:10], v1, s[12:13] offset:16
	s_mov_b32 s6, exec_lo
	s_mov_b32 s5, exec_lo
	v_mbcnt_lo_u32_b32 v0, s6, 0
	v_cmpx_eq_u32_e32 0, v0
	s_cbranch_execz .LBB1_151
; %bb.150:                              ;   in Loop: Header=BB1_3 Depth=1
	s_bcnt1_i32_b32 s6, s6
	v_mov_b32_e32 v0, s6
	s_waitcnt vmcnt(0)
	global_atomic_add_x2 v[9:10], v[0:1], off offset:8
.LBB1_151:                              ;   in Loop: Header=BB1_3 Depth=1
	s_or_b32 exec_lo, exec_lo, s5
	s_waitcnt vmcnt(0)
	global_load_dwordx2 v[12:13], v[9:10], off offset:16
	s_waitcnt vmcnt(0)
	v_cmp_eq_u64_e32 vcc_lo, 0, v[12:13]
	s_cbranch_vccnz .LBB1_153
; %bb.152:                              ;   in Loop: Header=BB1_3 Depth=1
	global_load_dword v0, v[9:10], off offset:24
	s_waitcnt vmcnt(0)
	v_readfirstlane_b32 s5, v0
	s_waitcnt_vscnt null, 0x0
	global_store_dwordx2 v[12:13], v[0:1], off
	s_and_b32 m0, s5, 0x7fffff
	s_sendmsg sendmsg(MSG_INTERRUPT)
.LBB1_153:                              ;   in Loop: Header=BB1_3 Depth=1
	s_or_b32 exec_lo, exec_lo, s1
	v_add_co_u32 v9, vcc_lo, v7, v37
	v_add_co_ci_u32_e64 v10, null, 0, v20, vcc_lo
	s_branch .LBB1_157
	.p2align	6
.LBB1_154:                              ;   in Loop: Header=BB1_157 Depth=2
	s_or_b32 exec_lo, exec_lo, s1
	v_readfirstlane_b32 s1, v0
	s_cmp_eq_u32 s1, 0
	s_cbranch_scc1 .LBB1_156
; %bb.155:                              ;   in Loop: Header=BB1_157 Depth=2
	s_sleep 1
	s_cbranch_execnz .LBB1_157
	s_branch .LBB1_159
	.p2align	6
.LBB1_156:                              ;   in Loop: Header=BB1_3 Depth=1
	s_branch .LBB1_159
.LBB1_157:                              ;   Parent Loop BB1_3 Depth=1
                                        ; =>  This Inner Loop Header: Depth=2
	v_mov_b32_e32 v0, 1
	s_and_saveexec_b32 s1, s0
	s_cbranch_execz .LBB1_154
; %bb.158:                              ;   in Loop: Header=BB1_157 Depth=2
	global_load_dword v0, v[5:6], off offset:20 glc dlc
	s_waitcnt vmcnt(0)
	buffer_gl1_inv
	buffer_gl0_inv
	v_and_b32_e32 v0, 1, v0
	s_branch .LBB1_154
.LBB1_159:                              ;   in Loop: Header=BB1_3 Depth=1
	global_load_dwordx2 v[9:10], v[9:10], off
	s_and_saveexec_b32 s5, s0
	s_cbranch_execz .LBB1_163
; %bb.160:                              ;   in Loop: Header=BB1_3 Depth=1
	s_clause 0x2
	global_load_dwordx2 v[5:6], v1, s[12:13] offset:40
	global_load_dwordx2 v[16:17], v1, s[12:13] offset:24 glc dlc
	global_load_dwordx2 v[12:13], v1, s[12:13]
	s_waitcnt vmcnt(2)
	v_readfirstlane_b32 s6, v5
	v_readfirstlane_b32 s7, v6
	s_add_u32 s16, s6, 1
	s_addc_u32 s17, s7, 0
	s_add_u32 s0, s16, s14
	s_addc_u32 s1, s17, s15
	s_cmp_eq_u64 s[0:1], 0
	s_cselect_b32 s1, s17, s1
	s_cselect_b32 s0, s16, s0
	v_mov_b32_e32 v15, s1
	s_and_b64 s[6:7], s[0:1], s[6:7]
	v_mov_b32_e32 v14, s0
	s_mul_i32 s7, s7, 24
	s_mul_hi_u32 s14, s6, 24
	s_mul_i32 s6, s6, 24
	s_add_i32 s14, s14, s7
	s_waitcnt vmcnt(0)
	v_add_co_u32 v5, vcc_lo, v12, s6
	v_add_co_ci_u32_e64 v6, null, s14, v13, vcc_lo
	global_store_dwordx2 v[5:6], v[16:17], off
	s_waitcnt_vscnt null, 0x0
	global_atomic_cmpswap_x2 v[14:15], v1, v[14:17], s[12:13] offset:24 glc
	s_waitcnt vmcnt(0)
	v_cmp_ne_u64_e32 vcc_lo, v[14:15], v[16:17]
	s_and_b32 exec_lo, exec_lo, vcc_lo
	s_cbranch_execz .LBB1_163
; %bb.161:                              ;   in Loop: Header=BB1_3 Depth=1
	s_mov_b32 s6, 0
.LBB1_162:                              ;   Parent Loop BB1_3 Depth=1
                                        ; =>  This Inner Loop Header: Depth=2
	v_mov_b32_e32 v12, s0
	v_mov_b32_e32 v13, s1
	s_sleep 1
	global_store_dwordx2 v[5:6], v[14:15], off
	s_waitcnt_vscnt null, 0x0
	global_atomic_cmpswap_x2 v[12:13], v1, v[12:15], s[12:13] offset:24 glc
	s_waitcnt vmcnt(0)
	v_cmp_eq_u64_e32 vcc_lo, v[12:13], v[14:15]
	v_mov_b32_e32 v15, v13
	v_mov_b32_e32 v14, v12
	s_or_b32 s6, vcc_lo, s6
	s_andn2_b32 exec_lo, exec_lo, s6
	s_cbranch_execnz .LBB1_162
.LBB1_163:                              ;   in Loop: Header=BB1_3 Depth=1
	s_or_b32 exec_lo, exec_lo, s5
	v_readfirstlane_b32 s0, v36
	v_mov_b32_e32 v5, 0
	v_mov_b32_e32 v6, 0
	v_cmp_eq_u32_e64 s0, s0, v36
	s_and_saveexec_b32 s1, s0
	s_cbranch_execz .LBB1_169
; %bb.164:                              ;   in Loop: Header=BB1_3 Depth=1
	global_load_dwordx2 v[14:15], v1, s[12:13] offset:24 glc dlc
	s_waitcnt vmcnt(0)
	buffer_gl1_inv
	buffer_gl0_inv
	s_clause 0x1
	global_load_dwordx2 v[5:6], v1, s[12:13] offset:40
	global_load_dwordx2 v[12:13], v1, s[12:13]
	s_mov_b32 s5, exec_lo
	s_waitcnt vmcnt(1)
	v_and_b32_e32 v0, v6, v15
	v_and_b32_e32 v5, v5, v14
	v_mul_lo_u32 v0, v0, 24
	v_mul_hi_u32 v6, v5, 24
	v_mul_lo_u32 v5, v5, 24
	v_add_nc_u32_e32 v0, v6, v0
	s_waitcnt vmcnt(0)
	v_add_co_u32 v5, vcc_lo, v12, v5
	v_add_co_ci_u32_e64 v6, null, v13, v0, vcc_lo
	global_load_dwordx2 v[12:13], v[5:6], off glc dlc
	s_waitcnt vmcnt(0)
	global_atomic_cmpswap_x2 v[5:6], v1, v[12:15], s[12:13] offset:24 glc
	s_waitcnt vmcnt(0)
	buffer_gl1_inv
	buffer_gl0_inv
	v_cmpx_ne_u64_e64 v[5:6], v[14:15]
	s_cbranch_execz .LBB1_168
; %bb.165:                              ;   in Loop: Header=BB1_3 Depth=1
	s_mov_b32 s6, 0
	.p2align	6
.LBB1_166:                              ;   Parent Loop BB1_3 Depth=1
                                        ; =>  This Inner Loop Header: Depth=2
	s_sleep 1
	s_clause 0x1
	global_load_dwordx2 v[12:13], v1, s[12:13] offset:40
	global_load_dwordx2 v[16:17], v1, s[12:13]
	v_mov_b32_e32 v15, v6
	v_mov_b32_e32 v14, v5
	s_waitcnt vmcnt(1)
	v_and_b32_e32 v0, v12, v14
	v_and_b32_e32 v7, v13, v15
	s_waitcnt vmcnt(0)
	v_mad_u64_u32 v[5:6], null, v0, 24, v[16:17]
	v_mov_b32_e32 v0, v6
	v_mad_u64_u32 v[6:7], null, v7, 24, v[0:1]
	global_load_dwordx2 v[12:13], v[5:6], off glc dlc
	s_waitcnt vmcnt(0)
	global_atomic_cmpswap_x2 v[5:6], v1, v[12:15], s[12:13] offset:24 glc
	s_waitcnt vmcnt(0)
	buffer_gl1_inv
	buffer_gl0_inv
	v_cmp_eq_u64_e32 vcc_lo, v[5:6], v[14:15]
	s_or_b32 s6, vcc_lo, s6
	s_andn2_b32 exec_lo, exec_lo, s6
	s_cbranch_execnz .LBB1_166
; %bb.167:                              ;   in Loop: Header=BB1_3 Depth=1
	s_or_b32 exec_lo, exec_lo, s6
.LBB1_168:                              ;   in Loop: Header=BB1_3 Depth=1
	s_or_b32 exec_lo, exec_lo, s5
.LBB1_169:                              ;   in Loop: Header=BB1_3 Depth=1
	s_or_b32 exec_lo, exec_lo, s1
	s_clause 0x1
	global_load_dwordx2 v[17:18], v1, s[12:13] offset:40
	global_load_dwordx4 v[13:16], v1, s[12:13]
	v_readfirstlane_b32 s15, v6
	v_readfirstlane_b32 s14, v5
	s_mov_b32 s1, exec_lo
	s_waitcnt vmcnt(1)
	v_readfirstlane_b32 s6, v17
	v_readfirstlane_b32 s7, v18
	s_and_b64 s[6:7], s[6:7], s[14:15]
	s_mul_i32 s5, s7, 24
	s_mul_hi_u32 s16, s6, 24
	s_mul_i32 s17, s6, 24
	s_add_i32 s16, s16, s5
	s_waitcnt vmcnt(0)
	v_add_co_u32 v5, vcc_lo, v13, s17
	v_add_co_ci_u32_e64 v6, null, s16, v14, vcc_lo
	s_and_saveexec_b32 s5, s0
	s_cbranch_execz .LBB1_171
; %bb.170:                              ;   in Loop: Header=BB1_3 Depth=1
	v_mov_b32_e32 v0, s1
	global_store_dwordx4 v[5:6], v[0:3], off offset:8
.LBB1_171:                              ;   in Loop: Header=BB1_3 Depth=1
	s_or_b32 exec_lo, exec_lo, s5
	s_lshl_b64 s[6:7], s[6:7], 12
	s_mov_b32 s5, s4
	v_add_co_u32 v7, vcc_lo, v15, s6
	v_add_co_ci_u32_e64 v15, null, s7, v16, vcc_lo
	s_mov_b32 s7, s4
	s_mov_b32 s6, s4
	v_and_or_b32 v9, 0xffffff1f, v9, 32
	v_mov_b32_e32 v12, v1
	v_readfirstlane_b32 s16, v7
	v_readfirstlane_b32 s17, v15
	v_mov_b32_e32 v19, s7
	v_mov_b32_e32 v18, s6
	;; [unrolled: 1-line block ×4, first 2 shown]
	global_store_dwordx4 v37, v[9:12], s[16:17]
	global_store_dwordx4 v37, v[16:19], s[16:17] offset:16
	global_store_dwordx4 v37, v[16:19], s[16:17] offset:32
	global_store_dwordx4 v37, v[16:19], s[16:17] offset:48
	s_and_saveexec_b32 s1, s0
	s_cbranch_execz .LBB1_179
; %bb.172:                              ;   in Loop: Header=BB1_3 Depth=1
	s_clause 0x1
	global_load_dwordx2 v[18:19], v1, s[12:13] offset:32 glc dlc
	global_load_dwordx2 v[9:10], v1, s[12:13] offset:40
	v_mov_b32_e32 v16, s14
	v_mov_b32_e32 v17, s15
	s_waitcnt vmcnt(0)
	v_readfirstlane_b32 s6, v9
	v_readfirstlane_b32 s7, v10
	s_and_b64 s[6:7], s[6:7], s[14:15]
	s_mul_i32 s5, s7, 24
	s_mul_hi_u32 s7, s6, 24
	s_mul_i32 s6, s6, 24
	s_add_i32 s7, s7, s5
	v_add_co_u32 v13, vcc_lo, v13, s6
	v_add_co_ci_u32_e64 v14, null, s7, v14, vcc_lo
	s_mov_b32 s5, exec_lo
	global_store_dwordx2 v[13:14], v[18:19], off
	s_waitcnt_vscnt null, 0x0
	global_atomic_cmpswap_x2 v[11:12], v1, v[16:19], s[12:13] offset:32 glc
	s_waitcnt vmcnt(0)
	v_cmpx_ne_u64_e64 v[11:12], v[18:19]
	s_cbranch_execz .LBB1_175
; %bb.173:                              ;   in Loop: Header=BB1_3 Depth=1
	s_mov_b32 s6, 0
.LBB1_174:                              ;   Parent Loop BB1_3 Depth=1
                                        ; =>  This Inner Loop Header: Depth=2
	v_mov_b32_e32 v9, s14
	v_mov_b32_e32 v10, s15
	s_sleep 1
	global_store_dwordx2 v[13:14], v[11:12], off
	s_waitcnt_vscnt null, 0x0
	global_atomic_cmpswap_x2 v[9:10], v1, v[9:12], s[12:13] offset:32 glc
	s_waitcnt vmcnt(0)
	v_cmp_eq_u64_e32 vcc_lo, v[9:10], v[11:12]
	v_mov_b32_e32 v12, v10
	v_mov_b32_e32 v11, v9
	s_or_b32 s6, vcc_lo, s6
	s_andn2_b32 exec_lo, exec_lo, s6
	s_cbranch_execnz .LBB1_174
.LBB1_175:                              ;   in Loop: Header=BB1_3 Depth=1
	s_or_b32 exec_lo, exec_lo, s5
	global_load_dwordx2 v[9:10], v1, s[12:13] offset:16
	s_mov_b32 s6, exec_lo
	s_mov_b32 s5, exec_lo
	v_mbcnt_lo_u32_b32 v0, s6, 0
	v_cmpx_eq_u32_e32 0, v0
	s_cbranch_execz .LBB1_177
; %bb.176:                              ;   in Loop: Header=BB1_3 Depth=1
	s_bcnt1_i32_b32 s6, s6
	v_mov_b32_e32 v0, s6
	s_waitcnt vmcnt(0)
	global_atomic_add_x2 v[9:10], v[0:1], off offset:8
.LBB1_177:                              ;   in Loop: Header=BB1_3 Depth=1
	s_or_b32 exec_lo, exec_lo, s5
	s_waitcnt vmcnt(0)
	global_load_dwordx2 v[11:12], v[9:10], off offset:16
	s_waitcnt vmcnt(0)
	v_cmp_eq_u64_e32 vcc_lo, 0, v[11:12]
	s_cbranch_vccnz .LBB1_179
; %bb.178:                              ;   in Loop: Header=BB1_3 Depth=1
	global_load_dword v0, v[9:10], off offset:24
	s_waitcnt vmcnt(0)
	v_readfirstlane_b32 s5, v0
	s_waitcnt_vscnt null, 0x0
	global_store_dwordx2 v[11:12], v[0:1], off
	s_and_b32 m0, s5, 0x7fffff
	s_sendmsg sendmsg(MSG_INTERRUPT)
.LBB1_179:                              ;   in Loop: Header=BB1_3 Depth=1
	s_or_b32 exec_lo, exec_lo, s1
	v_add_co_u32 v9, vcc_lo, v7, v37
	v_add_co_ci_u32_e64 v10, null, 0, v15, vcc_lo
	s_branch .LBB1_183
	.p2align	6
.LBB1_180:                              ;   in Loop: Header=BB1_183 Depth=2
	s_or_b32 exec_lo, exec_lo, s1
	v_readfirstlane_b32 s1, v0
	s_cmp_eq_u32 s1, 0
	s_cbranch_scc1 .LBB1_182
; %bb.181:                              ;   in Loop: Header=BB1_183 Depth=2
	s_sleep 1
	s_cbranch_execnz .LBB1_183
	s_branch .LBB1_185
	.p2align	6
.LBB1_182:                              ;   in Loop: Header=BB1_3 Depth=1
	s_branch .LBB1_185
.LBB1_183:                              ;   Parent Loop BB1_3 Depth=1
                                        ; =>  This Inner Loop Header: Depth=2
	v_mov_b32_e32 v0, 1
	s_and_saveexec_b32 s1, s0
	s_cbranch_execz .LBB1_180
; %bb.184:                              ;   in Loop: Header=BB1_183 Depth=2
	global_load_dword v0, v[5:6], off offset:20 glc dlc
	s_waitcnt vmcnt(0)
	buffer_gl1_inv
	buffer_gl0_inv
	v_and_b32_e32 v0, 1, v0
	s_branch .LBB1_180
.LBB1_185:                              ;   in Loop: Header=BB1_3 Depth=1
	global_load_dwordx2 v[6:7], v[9:10], off
	s_and_saveexec_b32 s5, s0
	s_cbranch_execz .LBB1_189
; %bb.186:                              ;   in Loop: Header=BB1_3 Depth=1
	s_clause 0x2
	global_load_dwordx2 v[9:10], v1, s[12:13] offset:40
	global_load_dwordx2 v[17:18], v1, s[12:13] offset:24 glc dlc
	global_load_dwordx2 v[11:12], v1, s[12:13]
	s_waitcnt vmcnt(2)
	v_readfirstlane_b32 s6, v9
	v_readfirstlane_b32 s7, v10
	s_add_u32 s16, s6, 1
	s_addc_u32 s17, s7, 0
	s_add_u32 s0, s16, s14
	s_addc_u32 s1, s17, s15
	s_cmp_eq_u64 s[0:1], 0
	s_cselect_b32 s1, s17, s1
	s_cselect_b32 s0, s16, s0
	v_mov_b32_e32 v16, s1
	s_and_b64 s[6:7], s[0:1], s[6:7]
	v_mov_b32_e32 v15, s0
	s_mul_i32 s7, s7, 24
	s_mul_hi_u32 s14, s6, 24
	s_mul_i32 s6, s6, 24
	s_add_i32 s14, s14, s7
	s_waitcnt vmcnt(0)
	v_add_co_u32 v13, vcc_lo, v11, s6
	v_add_co_ci_u32_e64 v14, null, s14, v12, vcc_lo
	global_store_dwordx2 v[13:14], v[17:18], off
	s_waitcnt_vscnt null, 0x0
	global_atomic_cmpswap_x2 v[11:12], v1, v[15:18], s[12:13] offset:24 glc
	s_waitcnt vmcnt(0)
	v_cmp_ne_u64_e32 vcc_lo, v[11:12], v[17:18]
	s_and_b32 exec_lo, exec_lo, vcc_lo
	s_cbranch_execz .LBB1_189
; %bb.187:                              ;   in Loop: Header=BB1_3 Depth=1
	s_mov_b32 s6, 0
.LBB1_188:                              ;   Parent Loop BB1_3 Depth=1
                                        ; =>  This Inner Loop Header: Depth=2
	v_mov_b32_e32 v9, s0
	v_mov_b32_e32 v10, s1
	s_sleep 1
	global_store_dwordx2 v[13:14], v[11:12], off
	s_waitcnt_vscnt null, 0x0
	global_atomic_cmpswap_x2 v[9:10], v1, v[9:12], s[12:13] offset:24 glc
	s_waitcnt vmcnt(0)
	v_cmp_eq_u64_e32 vcc_lo, v[9:10], v[11:12]
	v_mov_b32_e32 v12, v10
	v_mov_b32_e32 v11, v9
	s_or_b32 s6, vcc_lo, s6
	s_andn2_b32 exec_lo, exec_lo, s6
	s_cbranch_execnz .LBB1_188
.LBB1_189:                              ;   in Loop: Header=BB1_3 Depth=1
	s_or_b32 exec_lo, exec_lo, s5
	v_readfirstlane_b32 s0, v36
	v_mov_b32_e32 v14, 0
	v_mov_b32_e32 v15, 0
	v_cmp_eq_u32_e64 s0, s0, v36
	s_and_saveexec_b32 s1, s0
	s_cbranch_execz .LBB1_195
; %bb.190:                              ;   in Loop: Header=BB1_3 Depth=1
	global_load_dwordx2 v[11:12], v1, s[12:13] offset:24 glc dlc
	s_waitcnt vmcnt(0)
	buffer_gl1_inv
	buffer_gl0_inv
	s_clause 0x1
	global_load_dwordx2 v[9:10], v1, s[12:13] offset:40
	global_load_dwordx2 v[13:14], v1, s[12:13]
	s_mov_b32 s5, exec_lo
	s_waitcnt vmcnt(1)
	v_and_b32_e32 v0, v10, v12
	v_and_b32_e32 v5, v9, v11
	v_mul_lo_u32 v0, v0, 24
	v_mul_hi_u32 v9, v5, 24
	v_mul_lo_u32 v5, v5, 24
	v_add_nc_u32_e32 v0, v9, v0
	s_waitcnt vmcnt(0)
	v_add_co_u32 v9, vcc_lo, v13, v5
	v_add_co_ci_u32_e64 v10, null, v14, v0, vcc_lo
	global_load_dwordx2 v[9:10], v[9:10], off glc dlc
	s_waitcnt vmcnt(0)
	global_atomic_cmpswap_x2 v[14:15], v1, v[9:12], s[12:13] offset:24 glc
	s_waitcnt vmcnt(0)
	buffer_gl1_inv
	buffer_gl0_inv
	v_cmpx_ne_u64_e64 v[14:15], v[11:12]
	s_cbranch_execz .LBB1_194
; %bb.191:                              ;   in Loop: Header=BB1_3 Depth=1
	s_mov_b32 s6, 0
	.p2align	6
.LBB1_192:                              ;   Parent Loop BB1_3 Depth=1
                                        ; =>  This Inner Loop Header: Depth=2
	s_sleep 1
	s_clause 0x1
	global_load_dwordx2 v[9:10], v1, s[12:13] offset:40
	global_load_dwordx2 v[16:17], v1, s[12:13]
	v_mov_b32_e32 v11, v14
	v_mov_b32_e32 v12, v15
	s_waitcnt vmcnt(1)
	v_and_b32_e32 v0, v9, v11
	v_and_b32_e32 v5, v10, v12
	s_waitcnt vmcnt(0)
	v_mad_u64_u32 v[13:14], null, v0, 24, v[16:17]
	v_mov_b32_e32 v0, v14
	v_mad_u64_u32 v[9:10], null, v5, 24, v[0:1]
	v_mov_b32_e32 v14, v9
	global_load_dwordx2 v[9:10], v[13:14], off glc dlc
	s_waitcnt vmcnt(0)
	global_atomic_cmpswap_x2 v[14:15], v1, v[9:12], s[12:13] offset:24 glc
	s_waitcnt vmcnt(0)
	buffer_gl1_inv
	buffer_gl0_inv
	v_cmp_eq_u64_e32 vcc_lo, v[14:15], v[11:12]
	s_or_b32 s6, vcc_lo, s6
	s_andn2_b32 exec_lo, exec_lo, s6
	s_cbranch_execnz .LBB1_192
; %bb.193:                              ;   in Loop: Header=BB1_3 Depth=1
	s_or_b32 exec_lo, exec_lo, s6
.LBB1_194:                              ;   in Loop: Header=BB1_3 Depth=1
	s_or_b32 exec_lo, exec_lo, s5
.LBB1_195:                              ;   in Loop: Header=BB1_3 Depth=1
	s_or_b32 exec_lo, exec_lo, s1
	s_clause 0x1
	global_load_dwordx2 v[16:17], v1, s[12:13] offset:40
	global_load_dwordx4 v[10:13], v1, s[12:13]
	v_readfirstlane_b32 s15, v15
	v_readfirstlane_b32 s14, v14
	s_mov_b32 s1, exec_lo
	s_waitcnt vmcnt(1)
	v_readfirstlane_b32 s6, v16
	v_readfirstlane_b32 s7, v17
	s_and_b64 s[6:7], s[6:7], s[14:15]
	s_mul_i32 s5, s7, 24
	s_mul_hi_u32 s16, s6, 24
	s_mul_i32 s17, s6, 24
	s_add_i32 s16, s16, s5
	s_waitcnt vmcnt(0)
	v_add_co_u32 v14, vcc_lo, v10, s17
	v_add_co_ci_u32_e64 v15, null, s16, v11, vcc_lo
	s_and_saveexec_b32 s5, s0
	s_cbranch_execz .LBB1_197
; %bb.196:                              ;   in Loop: Header=BB1_3 Depth=1
	v_mov_b32_e32 v0, s1
	global_store_dwordx4 v[14:15], v[0:3], off offset:8
.LBB1_197:                              ;   in Loop: Header=BB1_3 Depth=1
	s_or_b32 exec_lo, exec_lo, s5
	s_lshl_b64 s[6:7], s[6:7], 12
	s_mov_b32 s5, s4
	v_add_co_u32 v0, vcc_lo, v12, s6
	v_add_co_ci_u32_e64 v5, null, s7, v13, vcc_lo
	s_mov_b32 s7, s4
	s_mov_b32 s6, s4
	v_and_or_b32 v6, 0xffffff1d, v6, 34
	v_mov_b32_e32 v9, v1
	v_readfirstlane_b32 s16, v0
	v_readfirstlane_b32 s17, v5
	v_mov_b32_e32 v19, s7
	v_mov_b32_e32 v18, s6
	;; [unrolled: 1-line block ×4, first 2 shown]
	global_store_dwordx4 v37, v[6:9], s[16:17]
	global_store_dwordx4 v37, v[16:19], s[16:17] offset:16
	global_store_dwordx4 v37, v[16:19], s[16:17] offset:32
	;; [unrolled: 1-line block ×3, first 2 shown]
	s_and_saveexec_b32 s1, s0
	s_cbranch_execz .LBB1_205
; %bb.198:                              ;   in Loop: Header=BB1_3 Depth=1
	s_clause 0x1
	global_load_dwordx2 v[18:19], v1, s[12:13] offset:32 glc dlc
	global_load_dwordx2 v[5:6], v1, s[12:13] offset:40
	v_mov_b32_e32 v16, s14
	v_mov_b32_e32 v17, s15
	s_waitcnt vmcnt(0)
	v_readfirstlane_b32 s6, v5
	v_readfirstlane_b32 s7, v6
	s_and_b64 s[6:7], s[6:7], s[14:15]
	s_mul_i32 s5, s7, 24
	s_mul_hi_u32 s7, s6, 24
	s_mul_i32 s6, s6, 24
	s_add_i32 s7, s7, s5
	v_add_co_u32 v9, vcc_lo, v10, s6
	v_add_co_ci_u32_e64 v10, null, s7, v11, vcc_lo
	s_mov_b32 s5, exec_lo
	global_store_dwordx2 v[9:10], v[18:19], off
	s_waitcnt_vscnt null, 0x0
	global_atomic_cmpswap_x2 v[7:8], v1, v[16:19], s[12:13] offset:32 glc
	s_waitcnt vmcnt(0)
	v_cmpx_ne_u64_e64 v[7:8], v[18:19]
	s_cbranch_execz .LBB1_201
; %bb.199:                              ;   in Loop: Header=BB1_3 Depth=1
	s_mov_b32 s6, 0
.LBB1_200:                              ;   Parent Loop BB1_3 Depth=1
                                        ; =>  This Inner Loop Header: Depth=2
	v_mov_b32_e32 v5, s14
	v_mov_b32_e32 v6, s15
	s_sleep 1
	global_store_dwordx2 v[9:10], v[7:8], off
	s_waitcnt_vscnt null, 0x0
	global_atomic_cmpswap_x2 v[5:6], v1, v[5:8], s[12:13] offset:32 glc
	s_waitcnt vmcnt(0)
	v_cmp_eq_u64_e32 vcc_lo, v[5:6], v[7:8]
	v_mov_b32_e32 v8, v6
	v_mov_b32_e32 v7, v5
	s_or_b32 s6, vcc_lo, s6
	s_andn2_b32 exec_lo, exec_lo, s6
	s_cbranch_execnz .LBB1_200
.LBB1_201:                              ;   in Loop: Header=BB1_3 Depth=1
	s_or_b32 exec_lo, exec_lo, s5
	global_load_dwordx2 v[5:6], v1, s[12:13] offset:16
	s_mov_b32 s6, exec_lo
	s_mov_b32 s5, exec_lo
	v_mbcnt_lo_u32_b32 v0, s6, 0
	v_cmpx_eq_u32_e32 0, v0
	s_cbranch_execz .LBB1_203
; %bb.202:                              ;   in Loop: Header=BB1_3 Depth=1
	s_bcnt1_i32_b32 s6, s6
	v_mov_b32_e32 v0, s6
	s_waitcnt vmcnt(0)
	global_atomic_add_x2 v[5:6], v[0:1], off offset:8
.LBB1_203:                              ;   in Loop: Header=BB1_3 Depth=1
	s_or_b32 exec_lo, exec_lo, s5
	s_waitcnt vmcnt(0)
	global_load_dwordx2 v[7:8], v[5:6], off offset:16
	s_waitcnt vmcnt(0)
	v_cmp_eq_u64_e32 vcc_lo, 0, v[7:8]
	s_cbranch_vccnz .LBB1_205
; %bb.204:                              ;   in Loop: Header=BB1_3 Depth=1
	global_load_dword v0, v[5:6], off offset:24
	s_waitcnt vmcnt(0)
	v_readfirstlane_b32 s5, v0
	s_waitcnt_vscnt null, 0x0
	global_store_dwordx2 v[7:8], v[0:1], off
	s_and_b32 m0, s5, 0x7fffff
	s_sendmsg sendmsg(MSG_INTERRUPT)
.LBB1_205:                              ;   in Loop: Header=BB1_3 Depth=1
	s_or_b32 exec_lo, exec_lo, s1
	s_branch .LBB1_209
	.p2align	6
.LBB1_206:                              ;   in Loop: Header=BB1_209 Depth=2
	s_or_b32 exec_lo, exec_lo, s1
	v_readfirstlane_b32 s1, v0
	s_cmp_eq_u32 s1, 0
	s_cbranch_scc1 .LBB1_208
; %bb.207:                              ;   in Loop: Header=BB1_209 Depth=2
	s_sleep 1
	s_cbranch_execnz .LBB1_209
	s_branch .LBB1_211
	.p2align	6
.LBB1_208:                              ;   in Loop: Header=BB1_3 Depth=1
	s_branch .LBB1_211
.LBB1_209:                              ;   Parent Loop BB1_3 Depth=1
                                        ; =>  This Inner Loop Header: Depth=2
	v_mov_b32_e32 v0, 1
	s_and_saveexec_b32 s1, s0
	s_cbranch_execz .LBB1_206
; %bb.210:                              ;   in Loop: Header=BB1_209 Depth=2
	global_load_dword v0, v[14:15], off offset:20 glc dlc
	s_waitcnt vmcnt(0)
	buffer_gl1_inv
	buffer_gl0_inv
	v_and_b32_e32 v0, 1, v0
	s_branch .LBB1_206
.LBB1_211:                              ;   in Loop: Header=BB1_3 Depth=1
	s_and_b32 exec_lo, exec_lo, s0
	s_cbranch_execz .LBB1_2
; %bb.212:                              ;   in Loop: Header=BB1_3 Depth=1
	s_clause 0x2
	global_load_dwordx2 v[5:6], v1, s[12:13] offset:40
	global_load_dwordx2 v[13:14], v1, s[12:13] offset:24 glc dlc
	global_load_dwordx2 v[7:8], v1, s[12:13]
	s_waitcnt vmcnt(2)
	v_readfirstlane_b32 s6, v5
	v_readfirstlane_b32 s7, v6
	s_add_u32 s5, s6, 1
	s_addc_u32 s16, s7, 0
	s_add_u32 s0, s5, s14
	s_addc_u32 s1, s16, s15
	s_cmp_eq_u64 s[0:1], 0
	s_cselect_b32 s1, s16, s1
	s_cselect_b32 s0, s5, s0
	v_mov_b32_e32 v12, s1
	s_and_b64 s[6:7], s[0:1], s[6:7]
	v_mov_b32_e32 v11, s0
	s_mul_i32 s5, s7, 24
	s_mul_hi_u32 s7, s6, 24
	s_mul_i32 s6, s6, 24
	s_add_i32 s7, s7, s5
	s_waitcnt vmcnt(0)
	v_add_co_u32 v9, vcc_lo, v7, s6
	v_add_co_ci_u32_e64 v10, null, s7, v8, vcc_lo
	global_store_dwordx2 v[9:10], v[13:14], off
	s_waitcnt_vscnt null, 0x0
	global_atomic_cmpswap_x2 v[7:8], v1, v[11:14], s[12:13] offset:24 glc
	s_waitcnt vmcnt(0)
	v_cmp_ne_u64_e32 vcc_lo, v[7:8], v[13:14]
	s_and_b32 exec_lo, exec_lo, vcc_lo
	s_cbranch_execz .LBB1_2
; %bb.213:                              ;   in Loop: Header=BB1_3 Depth=1
	s_mov_b32 s5, 0
.LBB1_214:                              ;   Parent Loop BB1_3 Depth=1
                                        ; =>  This Inner Loop Header: Depth=2
	v_mov_b32_e32 v5, s0
	v_mov_b32_e32 v6, s1
	s_sleep 1
	global_store_dwordx2 v[9:10], v[7:8], off
	s_waitcnt_vscnt null, 0x0
	global_atomic_cmpswap_x2 v[5:6], v1, v[5:8], s[12:13] offset:24 glc
	s_waitcnt vmcnt(0)
	v_cmp_eq_u64_e32 vcc_lo, v[5:6], v[7:8]
	v_mov_b32_e32 v8, v6
	v_mov_b32_e32 v7, v5
	s_or_b32 s5, vcc_lo, s5
	s_andn2_b32 exec_lo, exec_lo, s5
	s_cbranch_execnz .LBB1_214
	s_branch .LBB1_2
.LBB1_215:
	s_endpgm
	.section	.rodata,"a",@progbits
	.p2align	6, 0x0
	.amdhsa_kernel _Z10vec_verifyIiEvPT_S0_i
		.amdhsa_group_segment_fixed_size 0
		.amdhsa_private_segment_fixed_size 0
		.amdhsa_kernarg_size 272
		.amdhsa_user_sgpr_count 6
		.amdhsa_user_sgpr_private_segment_buffer 1
		.amdhsa_user_sgpr_dispatch_ptr 0
		.amdhsa_user_sgpr_queue_ptr 0
		.amdhsa_user_sgpr_kernarg_segment_ptr 1
		.amdhsa_user_sgpr_dispatch_id 0
		.amdhsa_user_sgpr_flat_scratch_init 0
		.amdhsa_user_sgpr_private_segment_size 0
		.amdhsa_wavefront_size32 1
		.amdhsa_uses_dynamic_stack 0
		.amdhsa_system_sgpr_private_segment_wavefront_offset 0
		.amdhsa_system_sgpr_workgroup_id_x 1
		.amdhsa_system_sgpr_workgroup_id_y 0
		.amdhsa_system_sgpr_workgroup_id_z 0
		.amdhsa_system_sgpr_workgroup_info 0
		.amdhsa_system_vgpr_workitem_id 0
		.amdhsa_next_free_vgpr 38
		.amdhsa_next_free_sgpr 30
		.amdhsa_reserve_vcc 1
		.amdhsa_reserve_flat_scratch 0
		.amdhsa_float_round_mode_32 0
		.amdhsa_float_round_mode_16_64 0
		.amdhsa_float_denorm_mode_32 3
		.amdhsa_float_denorm_mode_16_64 3
		.amdhsa_dx10_clamp 1
		.amdhsa_ieee_mode 1
		.amdhsa_fp16_overflow 0
		.amdhsa_workgroup_processor_mode 1
		.amdhsa_memory_ordered 1
		.amdhsa_forward_progress 1
		.amdhsa_shared_vgpr_count 0
		.amdhsa_exception_fp_ieee_invalid_op 0
		.amdhsa_exception_fp_denorm_src 0
		.amdhsa_exception_fp_ieee_div_zero 0
		.amdhsa_exception_fp_ieee_overflow 0
		.amdhsa_exception_fp_ieee_underflow 0
		.amdhsa_exception_fp_ieee_inexact 0
		.amdhsa_exception_int_div_zero 0
	.end_amdhsa_kernel
	.section	.text._Z10vec_verifyIiEvPT_S0_i,"axG",@progbits,_Z10vec_verifyIiEvPT_S0_i,comdat
.Lfunc_end1:
	.size	_Z10vec_verifyIiEvPT_S0_i, .Lfunc_end1-_Z10vec_verifyIiEvPT_S0_i
                                        ; -- End function
	.set _Z10vec_verifyIiEvPT_S0_i.num_vgpr, 38
	.set _Z10vec_verifyIiEvPT_S0_i.num_agpr, 0
	.set _Z10vec_verifyIiEvPT_S0_i.numbered_sgpr, 30
	.set _Z10vec_verifyIiEvPT_S0_i.num_named_barrier, 0
	.set _Z10vec_verifyIiEvPT_S0_i.private_seg_size, 0
	.set _Z10vec_verifyIiEvPT_S0_i.uses_vcc, 1
	.set _Z10vec_verifyIiEvPT_S0_i.uses_flat_scratch, 0
	.set _Z10vec_verifyIiEvPT_S0_i.has_dyn_sized_stack, 0
	.set _Z10vec_verifyIiEvPT_S0_i.has_recursion, 0
	.set _Z10vec_verifyIiEvPT_S0_i.has_indirect_call, 0
	.section	.AMDGPU.csdata,"",@progbits
; Kernel info:
; codeLenInByte = 9052
; TotalNumSgprs: 32
; NumVgprs: 38
; ScratchSize: 0
; MemoryBound: 0
; FloatMode: 240
; IeeeMode: 1
; LDSByteSize: 0 bytes/workgroup (compile time only)
; SGPRBlocks: 0
; VGPRBlocks: 4
; NumSGPRsForWavesPerEU: 32
; NumVGPRsForWavesPerEU: 38
; Occupancy: 16
; WaveLimiterHint : 1
; COMPUTE_PGM_RSRC2:SCRATCH_EN: 0
; COMPUTE_PGM_RSRC2:USER_SGPR: 6
; COMPUTE_PGM_RSRC2:TRAP_HANDLER: 0
; COMPUTE_PGM_RSRC2:TGID_X_EN: 1
; COMPUTE_PGM_RSRC2:TGID_Y_EN: 0
; COMPUTE_PGM_RSRC2:TGID_Z_EN: 0
; COMPUTE_PGM_RSRC2:TIDIG_COMP_CNT: 0
	.section	.text._Z8vec_fillIdEvPT_S0_i,"axG",@progbits,_Z8vec_fillIdEvPT_S0_i,comdat
	.protected	_Z8vec_fillIdEvPT_S0_i  ; -- Begin function _Z8vec_fillIdEvPT_S0_i
	.globl	_Z8vec_fillIdEvPT_S0_i
	.p2align	8
	.type	_Z8vec_fillIdEvPT_S0_i,@function
_Z8vec_fillIdEvPT_S0_i:                 ; @_Z8vec_fillIdEvPT_S0_i
; %bb.0:
	s_clause 0x1
	s_load_dword s2, s[4:5], 0x24
	s_load_dword s8, s[4:5], 0x10
	s_add_u32 s0, s4, 24
	s_addc_u32 s1, s5, 0
	s_waitcnt lgkmcnt(0)
	s_and_b32 s7, s2, 0xffff
	s_mov_b32 s2, exec_lo
	v_mad_u64_u32 v[0:1], null, s6, s7, v[0:1]
	v_cmpx_gt_i32_e64 s8, v0
	s_cbranch_execz .LBB2_3
; %bb.1:
	s_load_dword s6, s[0:1], 0x0
	s_load_dwordx4 s[0:3], s[4:5], 0x0
	v_ashrrev_i32_e32 v1, 31, v0
	v_lshlrev_b64 v[1:2], 3, v[0:1]
	s_waitcnt lgkmcnt(0)
	s_mul_i32 s4, s6, s7
	v_add_co_u32 v1, vcc_lo, s0, v1
	v_add_co_ci_u32_e64 v2, null, s1, v2, vcc_lo
	s_ashr_i32 s5, s4, 31
	s_mov_b32 s1, 0
	s_lshl_b64 s[6:7], s[4:5], 3
.LBB2_2:                                ; =>This Inner Loop Header: Depth=1
	v_cvt_f64_i32_e32 v[3:4], v0
	v_add_nc_u32_e32 v0, s4, v0
	v_cmp_le_i32_e32 vcc_lo, s8, v0
	s_or_b32 s1, vcc_lo, s1
	v_mul_f64 v[3:4], s[2:3], v[3:4]
	global_store_dwordx2 v[1:2], v[3:4], off
	v_add_co_u32 v1, s0, v1, s6
	v_add_co_ci_u32_e64 v2, null, s7, v2, s0
	s_andn2_b32 exec_lo, exec_lo, s1
	s_cbranch_execnz .LBB2_2
.LBB2_3:
	s_endpgm
	.section	.rodata,"a",@progbits
	.p2align	6, 0x0
	.amdhsa_kernel _Z8vec_fillIdEvPT_S0_i
		.amdhsa_group_segment_fixed_size 0
		.amdhsa_private_segment_fixed_size 0
		.amdhsa_kernarg_size 280
		.amdhsa_user_sgpr_count 6
		.amdhsa_user_sgpr_private_segment_buffer 1
		.amdhsa_user_sgpr_dispatch_ptr 0
		.amdhsa_user_sgpr_queue_ptr 0
		.amdhsa_user_sgpr_kernarg_segment_ptr 1
		.amdhsa_user_sgpr_dispatch_id 0
		.amdhsa_user_sgpr_flat_scratch_init 0
		.amdhsa_user_sgpr_private_segment_size 0
		.amdhsa_wavefront_size32 1
		.amdhsa_uses_dynamic_stack 0
		.amdhsa_system_sgpr_private_segment_wavefront_offset 0
		.amdhsa_system_sgpr_workgroup_id_x 1
		.amdhsa_system_sgpr_workgroup_id_y 0
		.amdhsa_system_sgpr_workgroup_id_z 0
		.amdhsa_system_sgpr_workgroup_info 0
		.amdhsa_system_vgpr_workitem_id 0
		.amdhsa_next_free_vgpr 5
		.amdhsa_next_free_sgpr 9
		.amdhsa_reserve_vcc 1
		.amdhsa_reserve_flat_scratch 0
		.amdhsa_float_round_mode_32 0
		.amdhsa_float_round_mode_16_64 0
		.amdhsa_float_denorm_mode_32 3
		.amdhsa_float_denorm_mode_16_64 3
		.amdhsa_dx10_clamp 1
		.amdhsa_ieee_mode 1
		.amdhsa_fp16_overflow 0
		.amdhsa_workgroup_processor_mode 1
		.amdhsa_memory_ordered 1
		.amdhsa_forward_progress 1
		.amdhsa_shared_vgpr_count 0
		.amdhsa_exception_fp_ieee_invalid_op 0
		.amdhsa_exception_fp_denorm_src 0
		.amdhsa_exception_fp_ieee_div_zero 0
		.amdhsa_exception_fp_ieee_overflow 0
		.amdhsa_exception_fp_ieee_underflow 0
		.amdhsa_exception_fp_ieee_inexact 0
		.amdhsa_exception_int_div_zero 0
	.end_amdhsa_kernel
	.section	.text._Z8vec_fillIdEvPT_S0_i,"axG",@progbits,_Z8vec_fillIdEvPT_S0_i,comdat
.Lfunc_end2:
	.size	_Z8vec_fillIdEvPT_S0_i, .Lfunc_end2-_Z8vec_fillIdEvPT_S0_i
                                        ; -- End function
	.set _Z8vec_fillIdEvPT_S0_i.num_vgpr, 5
	.set _Z8vec_fillIdEvPT_S0_i.num_agpr, 0
	.set _Z8vec_fillIdEvPT_S0_i.numbered_sgpr, 9
	.set _Z8vec_fillIdEvPT_S0_i.num_named_barrier, 0
	.set _Z8vec_fillIdEvPT_S0_i.private_seg_size, 0
	.set _Z8vec_fillIdEvPT_S0_i.uses_vcc, 1
	.set _Z8vec_fillIdEvPT_S0_i.uses_flat_scratch, 0
	.set _Z8vec_fillIdEvPT_S0_i.has_dyn_sized_stack, 0
	.set _Z8vec_fillIdEvPT_S0_i.has_recursion, 0
	.set _Z8vec_fillIdEvPT_S0_i.has_indirect_call, 0
	.section	.AMDGPU.csdata,"",@progbits
; Kernel info:
; codeLenInByte = 188
; TotalNumSgprs: 11
; NumVgprs: 5
; ScratchSize: 0
; MemoryBound: 0
; FloatMode: 240
; IeeeMode: 1
; LDSByteSize: 0 bytes/workgroup (compile time only)
; SGPRBlocks: 0
; VGPRBlocks: 0
; NumSGPRsForWavesPerEU: 11
; NumVGPRsForWavesPerEU: 5
; Occupancy: 16
; WaveLimiterHint : 0
; COMPUTE_PGM_RSRC2:SCRATCH_EN: 0
; COMPUTE_PGM_RSRC2:USER_SGPR: 6
; COMPUTE_PGM_RSRC2:TRAP_HANDLER: 0
; COMPUTE_PGM_RSRC2:TGID_X_EN: 1
; COMPUTE_PGM_RSRC2:TGID_Y_EN: 0
; COMPUTE_PGM_RSRC2:TGID_Z_EN: 0
; COMPUTE_PGM_RSRC2:TIDIG_COMP_CNT: 0
	.section	.text._Z10vec_verifyIdEvPT_S0_i,"axG",@progbits,_Z10vec_verifyIdEvPT_S0_i,comdat
	.protected	_Z10vec_verifyIdEvPT_S0_i ; -- Begin function _Z10vec_verifyIdEvPT_S0_i
	.globl	_Z10vec_verifyIdEvPT_S0_i
	.p2align	8
	.type	_Z10vec_verifyIdEvPT_S0_i,@function
_Z10vec_verifyIdEvPT_S0_i:              ; @_Z10vec_verifyIdEvPT_S0_i
; %bb.0:
	s_clause 0x1
	s_load_dword s0, s[4:5], 0x24
	s_load_dword s22, s[4:5], 0x10
	s_add_u32 s2, s4, 24
	s_addc_u32 s3, s5, 0
	s_mov_b32 s1, exec_lo
	s_waitcnt lgkmcnt(0)
	s_and_b32 s0, s0, 0xffff
	v_mad_u64_u32 v[36:37], null, s6, s0, v[0:1]
	v_cmpx_gt_i32_e64 s22, v36
	s_cbranch_execz .LBB3_215
; %bb.1:
	s_load_dword s24, s[2:3], 0x0
	s_load_dwordx4 s[4:7], s[4:5], 0x0
	v_mbcnt_lo_u32_b32 v38, -1, 0
	s_getpc_b64 s[10:11]
	s_add_u32 s10, s10, .str@rel32@lo+4
	s_addc_u32 s11, s11, .str@rel32@hi+12
	v_mov_b32_e32 v1, 0
	v_mov_b32_e32 v2, 2
	;; [unrolled: 1-line block ×4, first 2 shown]
	v_lshlrev_b32_e32 v39, 6, v38
	s_cmp_lg_u64 s[10:11], 0
	s_mov_b32 s8, 0
	s_cselect_b32 s23, -1, 0
	s_mov_b32 s25, 0
	s_waitcnt lgkmcnt(0)
	s_mul_i32 s24, s24, s0
	s_branch .LBB3_3
.LBB3_2:                                ;   in Loop: Header=BB3_3 Depth=1
	s_or_b32 exec_lo, exec_lo, s26
	v_add_nc_u32_e32 v36, s24, v36
	v_cmp_le_i32_e32 vcc_lo, s22, v36
	s_or_b32 s25, vcc_lo, s25
	s_andn2_b32 exec_lo, exec_lo, s25
	s_cbranch_execz .LBB3_215
.LBB3_3:                                ; =>This Loop Header: Depth=1
                                        ;     Child Loop BB3_7 Depth 2
                                        ;     Child Loop BB3_15 Depth 2
	;; [unrolled: 1-line block ×9, first 2 shown]
                                        ;       Child Loop BB3_36 Depth 3
                                        ;       Child Loop BB3_43 Depth 3
	;; [unrolled: 1-line block ×11, first 2 shown]
                                        ;     Child Loop BB3_140 Depth 2
                                        ;     Child Loop BB3_148 Depth 2
	;; [unrolled: 1-line block ×12, first 2 shown]
	v_ashrrev_i32_e32 v37, 31, v36
	s_mov_b32 s26, exec_lo
	v_lshlrev_b64 v[5:6], 3, v[36:37]
	v_add_co_u32 v5, vcc_lo, s4, v5
	v_add_co_ci_u32_e64 v6, null, s5, v6, vcc_lo
	global_load_dwordx2 v[12:13], v[5:6], off
	v_cvt_f64_i32_e32 v[5:6], v36
	v_mul_f64 v[8:9], s[6:7], v[5:6]
	s_waitcnt vmcnt(0)
	v_cmpx_neq_f64_e32 v[12:13], v[8:9]
	s_cbranch_execz .LBB3_2
; %bb.4:                                ;   in Loop: Header=BB3_3 Depth=1
	s_load_dwordx2 s[12:13], s[2:3], 0x50
	v_readfirstlane_b32 s0, v38
	v_mov_b32_e32 v5, 0
	v_mov_b32_e32 v6, 0
	v_cmp_eq_u32_e64 s0, s0, v38
	s_and_saveexec_b32 s1, s0
	s_cbranch_execz .LBB3_10
; %bb.5:                                ;   in Loop: Header=BB3_3 Depth=1
	s_waitcnt lgkmcnt(0)
	global_load_dwordx2 v[16:17], v1, s[12:13] offset:24 glc dlc
	s_waitcnt vmcnt(0)
	buffer_gl1_inv
	buffer_gl0_inv
	s_clause 0x1
	global_load_dwordx2 v[5:6], v1, s[12:13] offset:40
	global_load_dwordx2 v[10:11], v1, s[12:13]
	s_mov_b32 s9, exec_lo
	s_waitcnt vmcnt(1)
	v_and_b32_e32 v0, v6, v17
	v_and_b32_e32 v5, v5, v16
	v_mul_lo_u32 v0, v0, 24
	v_mul_hi_u32 v6, v5, 24
	v_mul_lo_u32 v5, v5, 24
	v_add_nc_u32_e32 v0, v6, v0
	s_waitcnt vmcnt(0)
	v_add_co_u32 v5, vcc_lo, v10, v5
	v_add_co_ci_u32_e64 v6, null, v11, v0, vcc_lo
	global_load_dwordx2 v[14:15], v[5:6], off glc dlc
	s_waitcnt vmcnt(0)
	global_atomic_cmpswap_x2 v[5:6], v1, v[14:17], s[12:13] offset:24 glc
	s_waitcnt vmcnt(0)
	buffer_gl1_inv
	buffer_gl0_inv
	v_cmpx_ne_u64_e64 v[5:6], v[16:17]
	s_cbranch_execz .LBB3_9
; %bb.6:                                ;   in Loop: Header=BB3_3 Depth=1
	s_mov_b32 s10, 0
	.p2align	6
.LBB3_7:                                ;   Parent Loop BB3_3 Depth=1
                                        ; =>  This Inner Loop Header: Depth=2
	s_sleep 1
	s_clause 0x1
	global_load_dwordx2 v[10:11], v1, s[12:13] offset:40
	global_load_dwordx2 v[14:15], v1, s[12:13]
	v_mov_b32_e32 v17, v6
	v_mov_b32_e32 v16, v5
	s_waitcnt vmcnt(1)
	v_and_b32_e32 v0, v10, v16
	v_and_b32_e32 v7, v11, v17
	s_waitcnt vmcnt(0)
	v_mad_u64_u32 v[5:6], null, v0, 24, v[14:15]
	v_mov_b32_e32 v0, v6
	v_mad_u64_u32 v[6:7], null, v7, 24, v[0:1]
	global_load_dwordx2 v[14:15], v[5:6], off glc dlc
	s_waitcnt vmcnt(0)
	global_atomic_cmpswap_x2 v[5:6], v1, v[14:17], s[12:13] offset:24 glc
	s_waitcnt vmcnt(0)
	buffer_gl1_inv
	buffer_gl0_inv
	v_cmp_eq_u64_e32 vcc_lo, v[5:6], v[16:17]
	s_or_b32 s10, vcc_lo, s10
	s_andn2_b32 exec_lo, exec_lo, s10
	s_cbranch_execnz .LBB3_7
; %bb.8:                                ;   in Loop: Header=BB3_3 Depth=1
	s_or_b32 exec_lo, exec_lo, s10
.LBB3_9:                                ;   in Loop: Header=BB3_3 Depth=1
	s_or_b32 exec_lo, exec_lo, s9
.LBB3_10:                               ;   in Loop: Header=BB3_3 Depth=1
	s_or_b32 exec_lo, exec_lo, s1
	s_waitcnt lgkmcnt(0)
	s_clause 0x1
	global_load_dwordx2 v[10:11], v1, s[12:13] offset:40
	global_load_dwordx4 v[14:17], v1, s[12:13]
	v_readfirstlane_b32 s15, v6
	v_readfirstlane_b32 s14, v5
	s_mov_b32 s1, exec_lo
	s_waitcnt vmcnt(1)
	v_readfirstlane_b32 s10, v10
	v_readfirstlane_b32 s11, v11
	s_and_b64 s[10:11], s[10:11], s[14:15]
	s_mul_i32 s9, s11, 24
	s_mul_hi_u32 s16, s10, 24
	s_mul_i32 s17, s10, 24
	s_add_i32 s16, s16, s9
	s_waitcnt vmcnt(0)
	v_add_co_u32 v10, vcc_lo, v14, s17
	v_add_co_ci_u32_e64 v11, null, s16, v15, vcc_lo
	s_and_saveexec_b32 s9, s0
	s_cbranch_execz .LBB3_12
; %bb.11:                               ;   in Loop: Header=BB3_3 Depth=1
	v_mov_b32_e32 v0, s1
	global_store_dwordx4 v[10:11], v[0:3], off offset:8
.LBB3_12:                               ;   in Loop: Header=BB3_3 Depth=1
	s_or_b32 exec_lo, exec_lo, s9
	s_lshl_b64 s[10:11], s[10:11], 12
	s_mov_b32 s9, s8
	v_add_co_u32 v18, vcc_lo, v16, s10
	v_add_co_ci_u32_e64 v19, null, s11, v17, vcc_lo
	s_mov_b32 s11, s8
	s_mov_b32 s10, s8
	v_mov_b32_e32 v5, v1
	v_mov_b32_e32 v6, v1
	;; [unrolled: 1-line block ×3, first 2 shown]
	v_readfirstlane_b32 s16, v18
	v_readfirstlane_b32 s17, v19
	v_mov_b32_e32 v23, s11
	v_mov_b32_e32 v22, s10
	;; [unrolled: 1-line block ×4, first 2 shown]
	global_store_dwordx4 v39, v[4:7], s[16:17]
	global_store_dwordx4 v39, v[20:23], s[16:17] offset:16
	global_store_dwordx4 v39, v[20:23], s[16:17] offset:32
	;; [unrolled: 1-line block ×3, first 2 shown]
	s_and_saveexec_b32 s1, s0
	s_cbranch_execz .LBB3_20
; %bb.13:                               ;   in Loop: Header=BB3_3 Depth=1
	s_clause 0x1
	global_load_dwordx2 v[22:23], v1, s[12:13] offset:32 glc dlc
	global_load_dwordx2 v[5:6], v1, s[12:13] offset:40
	v_mov_b32_e32 v20, s14
	v_mov_b32_e32 v21, s15
	s_mov_b32 s9, exec_lo
	s_waitcnt vmcnt(0)
	v_and_b32_e32 v0, s15, v6
	v_and_b32_e32 v5, s14, v5
	v_mul_lo_u32 v0, v0, 24
	v_mul_hi_u32 v6, v5, 24
	v_mul_lo_u32 v5, v5, 24
	v_add_nc_u32_e32 v0, v6, v0
	v_add_co_u32 v5, vcc_lo, v14, v5
	v_add_co_ci_u32_e64 v6, null, v15, v0, vcc_lo
	global_store_dwordx2 v[5:6], v[22:23], off
	s_waitcnt_vscnt null, 0x0
	global_atomic_cmpswap_x2 v[16:17], v1, v[20:23], s[12:13] offset:32 glc
	s_waitcnt vmcnt(0)
	v_cmpx_ne_u64_e64 v[16:17], v[22:23]
	s_cbranch_execz .LBB3_16
; %bb.14:                               ;   in Loop: Header=BB3_3 Depth=1
	s_mov_b32 s10, 0
.LBB3_15:                               ;   Parent Loop BB3_3 Depth=1
                                        ; =>  This Inner Loop Header: Depth=2
	v_mov_b32_e32 v14, s14
	v_mov_b32_e32 v15, s15
	s_sleep 1
	global_store_dwordx2 v[5:6], v[16:17], off
	s_waitcnt_vscnt null, 0x0
	global_atomic_cmpswap_x2 v[14:15], v1, v[14:17], s[12:13] offset:32 glc
	s_waitcnt vmcnt(0)
	v_cmp_eq_u64_e32 vcc_lo, v[14:15], v[16:17]
	v_mov_b32_e32 v17, v15
	v_mov_b32_e32 v16, v14
	s_or_b32 s10, vcc_lo, s10
	s_andn2_b32 exec_lo, exec_lo, s10
	s_cbranch_execnz .LBB3_15
.LBB3_16:                               ;   in Loop: Header=BB3_3 Depth=1
	s_or_b32 exec_lo, exec_lo, s9
	global_load_dwordx2 v[5:6], v1, s[12:13] offset:16
	s_mov_b32 s10, exec_lo
	s_mov_b32 s9, exec_lo
	v_mbcnt_lo_u32_b32 v0, s10, 0
	v_cmpx_eq_u32_e32 0, v0
	s_cbranch_execz .LBB3_18
; %bb.17:                               ;   in Loop: Header=BB3_3 Depth=1
	s_bcnt1_i32_b32 s10, s10
	v_mov_b32_e32 v0, s10
	s_waitcnt vmcnt(0)
	global_atomic_add_x2 v[5:6], v[0:1], off offset:8
.LBB3_18:                               ;   in Loop: Header=BB3_3 Depth=1
	s_or_b32 exec_lo, exec_lo, s9
	s_waitcnt vmcnt(0)
	global_load_dwordx2 v[14:15], v[5:6], off offset:16
	s_waitcnt vmcnt(0)
	v_cmp_eq_u64_e32 vcc_lo, 0, v[14:15]
	s_cbranch_vccnz .LBB3_20
; %bb.19:                               ;   in Loop: Header=BB3_3 Depth=1
	global_load_dword v0, v[5:6], off offset:24
	s_waitcnt vmcnt(0)
	v_readfirstlane_b32 s9, v0
	s_waitcnt_vscnt null, 0x0
	global_store_dwordx2 v[14:15], v[0:1], off
	s_and_b32 m0, s9, 0x7fffff
	s_sendmsg sendmsg(MSG_INTERRUPT)
.LBB3_20:                               ;   in Loop: Header=BB3_3 Depth=1
	s_or_b32 exec_lo, exec_lo, s1
	v_add_co_u32 v5, vcc_lo, v18, v39
	v_add_co_ci_u32_e64 v6, null, 0, v19, vcc_lo
	s_branch .LBB3_24
	.p2align	6
.LBB3_21:                               ;   in Loop: Header=BB3_24 Depth=2
	s_or_b32 exec_lo, exec_lo, s1
	v_readfirstlane_b32 s1, v0
	s_cmp_eq_u32 s1, 0
	s_cbranch_scc1 .LBB3_23
; %bb.22:                               ;   in Loop: Header=BB3_24 Depth=2
	s_sleep 1
	s_cbranch_execnz .LBB3_24
	s_branch .LBB3_26
	.p2align	6
.LBB3_23:                               ;   in Loop: Header=BB3_3 Depth=1
	s_branch .LBB3_26
.LBB3_24:                               ;   Parent Loop BB3_3 Depth=1
                                        ; =>  This Inner Loop Header: Depth=2
	v_mov_b32_e32 v0, 1
	s_and_saveexec_b32 s1, s0
	s_cbranch_execz .LBB3_21
; %bb.25:                               ;   in Loop: Header=BB3_24 Depth=2
	global_load_dword v0, v[10:11], off offset:20 glc dlc
	s_waitcnt vmcnt(0)
	buffer_gl1_inv
	buffer_gl0_inv
	v_and_b32_e32 v0, 1, v0
	s_branch .LBB3_21
.LBB3_26:                               ;   in Loop: Header=BB3_3 Depth=1
	global_load_dwordx2 v[14:15], v[5:6], off
	s_and_saveexec_b32 s9, s0
	s_cbranch_execz .LBB3_30
; %bb.27:                               ;   in Loop: Header=BB3_3 Depth=1
	s_clause 0x2
	global_load_dwordx2 v[5:6], v1, s[12:13] offset:40
	global_load_dwordx2 v[20:21], v1, s[12:13] offset:24 glc dlc
	global_load_dwordx2 v[10:11], v1, s[12:13]
	s_waitcnt vmcnt(2)
	v_readfirstlane_b32 s10, v5
	v_readfirstlane_b32 s11, v6
	s_add_u32 s16, s10, 1
	s_addc_u32 s17, s11, 0
	s_add_u32 s0, s16, s14
	s_addc_u32 s1, s17, s15
	s_cmp_eq_u64 s[0:1], 0
	s_cselect_b32 s1, s17, s1
	s_cselect_b32 s0, s16, s0
	v_mov_b32_e32 v19, s1
	s_and_b64 s[10:11], s[0:1], s[10:11]
	v_mov_b32_e32 v18, s0
	s_mul_i32 s11, s11, 24
	s_mul_hi_u32 s14, s10, 24
	s_mul_i32 s10, s10, 24
	s_add_i32 s14, s14, s11
	s_waitcnt vmcnt(0)
	v_add_co_u32 v5, vcc_lo, v10, s10
	v_add_co_ci_u32_e64 v6, null, s14, v11, vcc_lo
	global_store_dwordx2 v[5:6], v[20:21], off
	s_waitcnt_vscnt null, 0x0
	global_atomic_cmpswap_x2 v[18:19], v1, v[18:21], s[12:13] offset:24 glc
	s_waitcnt vmcnt(0)
	v_cmp_ne_u64_e32 vcc_lo, v[18:19], v[20:21]
	s_and_b32 exec_lo, exec_lo, vcc_lo
	s_cbranch_execz .LBB3_30
; %bb.28:                               ;   in Loop: Header=BB3_3 Depth=1
	s_mov_b32 s10, 0
.LBB3_29:                               ;   Parent Loop BB3_3 Depth=1
                                        ; =>  This Inner Loop Header: Depth=2
	v_mov_b32_e32 v16, s0
	v_mov_b32_e32 v17, s1
	s_sleep 1
	global_store_dwordx2 v[5:6], v[18:19], off
	s_waitcnt_vscnt null, 0x0
	global_atomic_cmpswap_x2 v[10:11], v1, v[16:19], s[12:13] offset:24 glc
	s_waitcnt vmcnt(0)
	v_cmp_eq_u64_e32 vcc_lo, v[10:11], v[18:19]
	v_mov_b32_e32 v19, v11
	v_mov_b32_e32 v18, v10
	s_or_b32 s10, vcc_lo, s10
	s_andn2_b32 exec_lo, exec_lo, s10
	s_cbranch_execnz .LBB3_29
.LBB3_30:                               ;   in Loop: Header=BB3_3 Depth=1
	s_or_b32 exec_lo, exec_lo, s9
	s_and_b32 vcc_lo, exec_lo, s23
	s_cbranch_vccz .LBB3_109
; %bb.31:                               ;   in Loop: Header=BB3_3 Depth=1
	s_waitcnt vmcnt(0)
	v_and_b32_e32 v7, 2, v14
	v_and_b32_e32 v16, -3, v14
	v_mov_b32_e32 v17, v15
	s_mov_b64 s[14:15], 35
	s_getpc_b64 s[10:11]
	s_add_u32 s10, s10, .str@rel32@lo+4
	s_addc_u32 s11, s11, .str@rel32@hi+12
	s_branch .LBB3_33
.LBB3_32:                               ;   in Loop: Header=BB3_33 Depth=2
	s_or_b32 exec_lo, exec_lo, s9
	s_sub_u32 s14, s14, s16
	s_subb_u32 s15, s15, s17
	s_add_u32 s10, s10, s16
	s_addc_u32 s11, s11, s17
	s_cmp_lg_u64 s[14:15], 0
	s_cbranch_scc0 .LBB3_108
.LBB3_33:                               ;   Parent Loop BB3_3 Depth=1
                                        ; =>  This Loop Header: Depth=2
                                        ;       Child Loop BB3_36 Depth 3
                                        ;       Child Loop BB3_43 Depth 3
	;; [unrolled: 1-line block ×11, first 2 shown]
	v_cmp_lt_u64_e64 s0, s[14:15], 56
	v_cmp_gt_u64_e64 s9, s[14:15], 7
	s_and_b32 s0, s0, exec_lo
	s_cselect_b32 s17, s15, 0
	s_cselect_b32 s16, s14, 56
	s_add_u32 s0, s10, 8
	s_addc_u32 s1, s11, 0
	s_and_b32 vcc_lo, exec_lo, s9
	s_cbranch_vccnz .LBB3_38
; %bb.34:                               ;   in Loop: Header=BB3_33 Depth=2
	v_mov_b32_e32 v18, 0
	v_mov_b32_e32 v19, 0
	s_cmp_eq_u64 s[14:15], 0
	s_cbranch_scc1 .LBB3_37
; %bb.35:                               ;   in Loop: Header=BB3_33 Depth=2
	s_lshl_b64 s[0:1], s[16:17], 3
	s_mov_b64 s[18:19], 0
	s_mov_b64 s[20:21], s[10:11]
.LBB3_36:                               ;   Parent Loop BB3_3 Depth=1
                                        ;     Parent Loop BB3_33 Depth=2
                                        ; =>    This Inner Loop Header: Depth=3
	global_load_ubyte v0, v1, s[20:21]
	s_waitcnt vmcnt(0)
	v_and_b32_e32 v0, 0xffff, v0
	v_lshlrev_b64 v[5:6], s18, v[0:1]
	s_add_u32 s18, s18, 8
	s_addc_u32 s19, s19, 0
	s_add_u32 s20, s20, 1
	s_addc_u32 s21, s21, 0
	s_cmp_lg_u32 s0, s18
	v_or_b32_e32 v18, v5, v18
	v_or_b32_e32 v19, v6, v19
	s_cbranch_scc1 .LBB3_36
.LBB3_37:                               ;   in Loop: Header=BB3_33 Depth=2
	s_mov_b64 s[0:1], s[10:11]
	s_mov_b32 s9, 0
	s_cbranch_execz .LBB3_39
	s_branch .LBB3_40
.LBB3_38:                               ;   in Loop: Header=BB3_33 Depth=2
	s_mov_b32 s9, 0
.LBB3_39:                               ;   in Loop: Header=BB3_33 Depth=2
	global_load_dwordx2 v[18:19], v1, s[10:11]
	s_add_i32 s9, s16, -8
.LBB3_40:                               ;   in Loop: Header=BB3_33 Depth=2
	s_add_u32 s18, s0, 8
	s_addc_u32 s19, s1, 0
	s_cmp_gt_u32 s9, 7
	s_cbranch_scc1 .LBB3_45
; %bb.41:                               ;   in Loop: Header=BB3_33 Depth=2
	v_mov_b32_e32 v20, 0
	v_mov_b32_e32 v21, 0
	s_cmp_eq_u32 s9, 0
	s_cbranch_scc1 .LBB3_44
; %bb.42:                               ;   in Loop: Header=BB3_33 Depth=2
	s_mov_b64 s[18:19], 0
	s_mov_b64 s[20:21], 0
.LBB3_43:                               ;   Parent Loop BB3_3 Depth=1
                                        ;     Parent Loop BB3_33 Depth=2
                                        ; =>    This Inner Loop Header: Depth=3
	s_add_u32 s28, s0, s20
	s_addc_u32 s29, s1, s21
	s_add_u32 s20, s20, 1
	global_load_ubyte v0, v1, s[28:29]
	s_addc_u32 s21, s21, 0
	s_waitcnt vmcnt(0)
	v_and_b32_e32 v0, 0xffff, v0
	v_lshlrev_b64 v[5:6], s18, v[0:1]
	s_add_u32 s18, s18, 8
	s_addc_u32 s19, s19, 0
	s_cmp_lg_u32 s9, s20
	v_or_b32_e32 v20, v5, v20
	v_or_b32_e32 v21, v6, v21
	s_cbranch_scc1 .LBB3_43
.LBB3_44:                               ;   in Loop: Header=BB3_33 Depth=2
	s_mov_b64 s[18:19], s[0:1]
	s_mov_b32 s27, 0
	s_cbranch_execz .LBB3_46
	s_branch .LBB3_47
.LBB3_45:                               ;   in Loop: Header=BB3_33 Depth=2
                                        ; implicit-def: $vgpr20_vgpr21
	s_mov_b32 s27, 0
.LBB3_46:                               ;   in Loop: Header=BB3_33 Depth=2
	global_load_dwordx2 v[20:21], v1, s[0:1]
	s_add_i32 s27, s9, -8
.LBB3_47:                               ;   in Loop: Header=BB3_33 Depth=2
	s_add_u32 s0, s18, 8
	s_addc_u32 s1, s19, 0
	s_cmp_gt_u32 s27, 7
	s_cbranch_scc1 .LBB3_52
; %bb.48:                               ;   in Loop: Header=BB3_33 Depth=2
	v_mov_b32_e32 v22, 0
	v_mov_b32_e32 v23, 0
	s_cmp_eq_u32 s27, 0
	s_cbranch_scc1 .LBB3_51
; %bb.49:                               ;   in Loop: Header=BB3_33 Depth=2
	s_mov_b64 s[0:1], 0
	s_mov_b64 s[20:21], 0
.LBB3_50:                               ;   Parent Loop BB3_3 Depth=1
                                        ;     Parent Loop BB3_33 Depth=2
                                        ; =>    This Inner Loop Header: Depth=3
	s_add_u32 s28, s18, s20
	s_addc_u32 s29, s19, s21
	s_add_u32 s20, s20, 1
	global_load_ubyte v0, v1, s[28:29]
	s_addc_u32 s21, s21, 0
	s_waitcnt vmcnt(0)
	v_and_b32_e32 v0, 0xffff, v0
	v_lshlrev_b64 v[5:6], s0, v[0:1]
	s_add_u32 s0, s0, 8
	s_addc_u32 s1, s1, 0
	s_cmp_lg_u32 s27, s20
	v_or_b32_e32 v22, v5, v22
	v_or_b32_e32 v23, v6, v23
	s_cbranch_scc1 .LBB3_50
.LBB3_51:                               ;   in Loop: Header=BB3_33 Depth=2
	s_mov_b64 s[0:1], s[18:19]
	s_mov_b32 s9, 0
	s_cbranch_execz .LBB3_53
	s_branch .LBB3_54
.LBB3_52:                               ;   in Loop: Header=BB3_33 Depth=2
	s_mov_b32 s9, 0
.LBB3_53:                               ;   in Loop: Header=BB3_33 Depth=2
	global_load_dwordx2 v[22:23], v1, s[18:19]
	s_add_i32 s9, s27, -8
.LBB3_54:                               ;   in Loop: Header=BB3_33 Depth=2
	s_add_u32 s18, s0, 8
	s_addc_u32 s19, s1, 0
	s_cmp_gt_u32 s9, 7
	s_cbranch_scc1 .LBB3_59
; %bb.55:                               ;   in Loop: Header=BB3_33 Depth=2
	v_mov_b32_e32 v24, 0
	v_mov_b32_e32 v25, 0
	s_cmp_eq_u32 s9, 0
	s_cbranch_scc1 .LBB3_58
; %bb.56:                               ;   in Loop: Header=BB3_33 Depth=2
	s_mov_b64 s[18:19], 0
	s_mov_b64 s[20:21], 0
.LBB3_57:                               ;   Parent Loop BB3_3 Depth=1
                                        ;     Parent Loop BB3_33 Depth=2
                                        ; =>    This Inner Loop Header: Depth=3
	s_add_u32 s28, s0, s20
	s_addc_u32 s29, s1, s21
	s_add_u32 s20, s20, 1
	global_load_ubyte v0, v1, s[28:29]
	s_addc_u32 s21, s21, 0
	s_waitcnt vmcnt(0)
	v_and_b32_e32 v0, 0xffff, v0
	v_lshlrev_b64 v[5:6], s18, v[0:1]
	s_add_u32 s18, s18, 8
	s_addc_u32 s19, s19, 0
	s_cmp_lg_u32 s9, s20
	v_or_b32_e32 v24, v5, v24
	v_or_b32_e32 v25, v6, v25
	s_cbranch_scc1 .LBB3_57
.LBB3_58:                               ;   in Loop: Header=BB3_33 Depth=2
	s_mov_b64 s[18:19], s[0:1]
	s_mov_b32 s27, 0
	s_cbranch_execz .LBB3_60
	s_branch .LBB3_61
.LBB3_59:                               ;   in Loop: Header=BB3_33 Depth=2
                                        ; implicit-def: $vgpr24_vgpr25
	s_mov_b32 s27, 0
.LBB3_60:                               ;   in Loop: Header=BB3_33 Depth=2
	global_load_dwordx2 v[24:25], v1, s[0:1]
	s_add_i32 s27, s9, -8
.LBB3_61:                               ;   in Loop: Header=BB3_33 Depth=2
	s_add_u32 s0, s18, 8
	s_addc_u32 s1, s19, 0
	s_cmp_gt_u32 s27, 7
	s_cbranch_scc1 .LBB3_66
; %bb.62:                               ;   in Loop: Header=BB3_33 Depth=2
	v_mov_b32_e32 v26, 0
	v_mov_b32_e32 v27, 0
	s_cmp_eq_u32 s27, 0
	s_cbranch_scc1 .LBB3_65
; %bb.63:                               ;   in Loop: Header=BB3_33 Depth=2
	s_mov_b64 s[0:1], 0
	s_mov_b64 s[20:21], 0
.LBB3_64:                               ;   Parent Loop BB3_3 Depth=1
                                        ;     Parent Loop BB3_33 Depth=2
                                        ; =>    This Inner Loop Header: Depth=3
	s_add_u32 s28, s18, s20
	s_addc_u32 s29, s19, s21
	s_add_u32 s20, s20, 1
	global_load_ubyte v0, v1, s[28:29]
	s_addc_u32 s21, s21, 0
	s_waitcnt vmcnt(0)
	v_and_b32_e32 v0, 0xffff, v0
	v_lshlrev_b64 v[5:6], s0, v[0:1]
	s_add_u32 s0, s0, 8
	s_addc_u32 s1, s1, 0
	s_cmp_lg_u32 s27, s20
	v_or_b32_e32 v26, v5, v26
	v_or_b32_e32 v27, v6, v27
	s_cbranch_scc1 .LBB3_64
.LBB3_65:                               ;   in Loop: Header=BB3_33 Depth=2
	s_mov_b64 s[0:1], s[18:19]
	s_mov_b32 s9, 0
	s_cbranch_execz .LBB3_67
	s_branch .LBB3_68
.LBB3_66:                               ;   in Loop: Header=BB3_33 Depth=2
	s_mov_b32 s9, 0
.LBB3_67:                               ;   in Loop: Header=BB3_33 Depth=2
	global_load_dwordx2 v[26:27], v1, s[18:19]
	s_add_i32 s9, s27, -8
.LBB3_68:                               ;   in Loop: Header=BB3_33 Depth=2
	s_add_u32 s18, s0, 8
	s_addc_u32 s19, s1, 0
	s_cmp_gt_u32 s9, 7
	s_cbranch_scc1 .LBB3_73
; %bb.69:                               ;   in Loop: Header=BB3_33 Depth=2
	v_mov_b32_e32 v28, 0
	v_mov_b32_e32 v29, 0
	s_cmp_eq_u32 s9, 0
	s_cbranch_scc1 .LBB3_72
; %bb.70:                               ;   in Loop: Header=BB3_33 Depth=2
	s_mov_b64 s[18:19], 0
	s_mov_b64 s[20:21], 0
.LBB3_71:                               ;   Parent Loop BB3_3 Depth=1
                                        ;     Parent Loop BB3_33 Depth=2
                                        ; =>    This Inner Loop Header: Depth=3
	s_add_u32 s28, s0, s20
	s_addc_u32 s29, s1, s21
	s_add_u32 s20, s20, 1
	global_load_ubyte v0, v1, s[28:29]
	s_addc_u32 s21, s21, 0
	s_waitcnt vmcnt(0)
	v_and_b32_e32 v0, 0xffff, v0
	v_lshlrev_b64 v[5:6], s18, v[0:1]
	s_add_u32 s18, s18, 8
	s_addc_u32 s19, s19, 0
	s_cmp_lg_u32 s9, s20
	v_or_b32_e32 v28, v5, v28
	v_or_b32_e32 v29, v6, v29
	s_cbranch_scc1 .LBB3_71
.LBB3_72:                               ;   in Loop: Header=BB3_33 Depth=2
	s_mov_b64 s[18:19], s[0:1]
	s_mov_b32 s27, 0
	s_cbranch_execz .LBB3_74
	s_branch .LBB3_75
.LBB3_73:                               ;   in Loop: Header=BB3_33 Depth=2
                                        ; implicit-def: $vgpr28_vgpr29
	s_mov_b32 s27, 0
.LBB3_74:                               ;   in Loop: Header=BB3_33 Depth=2
	global_load_dwordx2 v[28:29], v1, s[0:1]
	s_add_i32 s27, s9, -8
.LBB3_75:                               ;   in Loop: Header=BB3_33 Depth=2
	s_cmp_gt_u32 s27, 7
	s_cbranch_scc1 .LBB3_80
; %bb.76:                               ;   in Loop: Header=BB3_33 Depth=2
	v_mov_b32_e32 v30, 0
	v_mov_b32_e32 v31, 0
	s_cmp_eq_u32 s27, 0
	s_cbranch_scc1 .LBB3_79
; %bb.77:                               ;   in Loop: Header=BB3_33 Depth=2
	s_mov_b64 s[0:1], 0
	s_mov_b64 s[20:21], s[18:19]
.LBB3_78:                               ;   Parent Loop BB3_3 Depth=1
                                        ;     Parent Loop BB3_33 Depth=2
                                        ; =>    This Inner Loop Header: Depth=3
	global_load_ubyte v0, v1, s[20:21]
	s_add_i32 s27, s27, -1
	s_waitcnt vmcnt(0)
	v_and_b32_e32 v0, 0xffff, v0
	v_lshlrev_b64 v[5:6], s0, v[0:1]
	s_add_u32 s0, s0, 8
	s_addc_u32 s1, s1, 0
	s_add_u32 s20, s20, 1
	s_addc_u32 s21, s21, 0
	s_cmp_lg_u32 s27, 0
	v_or_b32_e32 v30, v5, v30
	v_or_b32_e32 v31, v6, v31
	s_cbranch_scc1 .LBB3_78
.LBB3_79:                               ;   in Loop: Header=BB3_33 Depth=2
	s_cbranch_execz .LBB3_81
	s_branch .LBB3_82
.LBB3_80:                               ;   in Loop: Header=BB3_33 Depth=2
.LBB3_81:                               ;   in Loop: Header=BB3_33 Depth=2
	global_load_dwordx2 v[30:31], v1, s[18:19]
.LBB3_82:                               ;   in Loop: Header=BB3_33 Depth=2
	v_readfirstlane_b32 s0, v38
	v_mov_b32_e32 v5, 0
	v_mov_b32_e32 v6, 0
	v_cmp_eq_u32_e64 s0, s0, v38
	s_and_saveexec_b32 s1, s0
	s_cbranch_execz .LBB3_88
; %bb.83:                               ;   in Loop: Header=BB3_33 Depth=2
	global_load_dwordx2 v[34:35], v1, s[12:13] offset:24 glc dlc
	s_waitcnt vmcnt(0)
	buffer_gl1_inv
	buffer_gl0_inv
	s_clause 0x1
	global_load_dwordx2 v[5:6], v1, s[12:13] offset:40
	global_load_dwordx2 v[10:11], v1, s[12:13]
	s_mov_b32 s9, exec_lo
	s_waitcnt vmcnt(1)
	v_and_b32_e32 v0, v6, v35
	v_and_b32_e32 v5, v5, v34
	v_mul_lo_u32 v0, v0, 24
	v_mul_hi_u32 v6, v5, 24
	v_mul_lo_u32 v5, v5, 24
	v_add_nc_u32_e32 v0, v6, v0
	s_waitcnt vmcnt(0)
	v_add_co_u32 v5, vcc_lo, v10, v5
	v_add_co_ci_u32_e64 v6, null, v11, v0, vcc_lo
	global_load_dwordx2 v[32:33], v[5:6], off glc dlc
	s_waitcnt vmcnt(0)
	global_atomic_cmpswap_x2 v[5:6], v1, v[32:35], s[12:13] offset:24 glc
	s_waitcnt vmcnt(0)
	buffer_gl1_inv
	buffer_gl0_inv
	v_cmpx_ne_u64_e64 v[5:6], v[34:35]
	s_cbranch_execz .LBB3_87
; %bb.84:                               ;   in Loop: Header=BB3_33 Depth=2
	s_mov_b32 s18, 0
	.p2align	6
.LBB3_85:                               ;   Parent Loop BB3_3 Depth=1
                                        ;     Parent Loop BB3_33 Depth=2
                                        ; =>    This Inner Loop Header: Depth=3
	s_sleep 1
	s_clause 0x1
	global_load_dwordx2 v[10:11], v1, s[12:13] offset:40
	global_load_dwordx2 v[32:33], v1, s[12:13]
	v_mov_b32_e32 v35, v6
	v_mov_b32_e32 v34, v5
	s_waitcnt vmcnt(1)
	v_and_b32_e32 v0, v10, v34
	v_and_b32_e32 v10, v11, v35
	s_waitcnt vmcnt(0)
	v_mad_u64_u32 v[5:6], null, v0, 24, v[32:33]
	v_mov_b32_e32 v0, v6
	v_mad_u64_u32 v[10:11], null, v10, 24, v[0:1]
	v_mov_b32_e32 v6, v10
	global_load_dwordx2 v[32:33], v[5:6], off glc dlc
	s_waitcnt vmcnt(0)
	global_atomic_cmpswap_x2 v[5:6], v1, v[32:35], s[12:13] offset:24 glc
	s_waitcnt vmcnt(0)
	buffer_gl1_inv
	buffer_gl0_inv
	v_cmp_eq_u64_e32 vcc_lo, v[5:6], v[34:35]
	s_or_b32 s18, vcc_lo, s18
	s_andn2_b32 exec_lo, exec_lo, s18
	s_cbranch_execnz .LBB3_85
; %bb.86:                               ;   in Loop: Header=BB3_33 Depth=2
	s_or_b32 exec_lo, exec_lo, s18
.LBB3_87:                               ;   in Loop: Header=BB3_33 Depth=2
	s_or_b32 exec_lo, exec_lo, s9
.LBB3_88:                               ;   in Loop: Header=BB3_33 Depth=2
	s_or_b32 exec_lo, exec_lo, s1
	s_clause 0x1
	global_load_dwordx2 v[10:11], v1, s[12:13] offset:40
	global_load_dwordx4 v[32:35], v1, s[12:13]
	v_readfirstlane_b32 s19, v6
	v_readfirstlane_b32 s18, v5
	s_mov_b32 s1, exec_lo
	s_waitcnt vmcnt(1)
	v_readfirstlane_b32 s20, v10
	v_readfirstlane_b32 s21, v11
	s_and_b64 s[20:21], s[20:21], s[18:19]
	s_mul_i32 s9, s21, 24
	s_mul_hi_u32 s27, s20, 24
	s_mul_i32 s28, s20, 24
	s_add_i32 s27, s27, s9
	s_waitcnt vmcnt(0)
	v_add_co_u32 v5, vcc_lo, v32, s28
	v_add_co_ci_u32_e64 v6, null, s27, v33, vcc_lo
	s_and_saveexec_b32 s9, s0
	s_cbranch_execz .LBB3_90
; %bb.89:                               ;   in Loop: Header=BB3_33 Depth=2
	v_mov_b32_e32 v0, s1
	global_store_dwordx4 v[5:6], v[0:3], off offset:8
.LBB3_90:                               ;   in Loop: Header=BB3_33 Depth=2
	s_or_b32 exec_lo, exec_lo, s9
	v_cmp_lt_u64_e64 vcc_lo, s[14:15], 57
	s_lshl_b64 s[20:21], s[20:21], 12
	v_and_b32_e32 v10, 0xffffff1f, v16
	s_lshl_b32 s1, s16, 2
	s_add_i32 s1, s1, 28
	v_cndmask_b32_e32 v0, 0, v7, vcc_lo
	v_add_co_u32 v34, vcc_lo, v34, s20
	v_add_co_ci_u32_e64 v35, null, s21, v35, vcc_lo
	v_or_b32_e32 v0, v10, v0
	v_readfirstlane_b32 s20, v34
	v_readfirstlane_b32 s21, v35
	v_and_or_b32 v16, 0x1e0, s1, v0
	global_store_dwordx4 v39, v[20:23], s[20:21] offset:16
	global_store_dwordx4 v39, v[16:19], s[20:21]
	global_store_dwordx4 v39, v[24:27], s[20:21] offset:32
	global_store_dwordx4 v39, v[28:31], s[20:21] offset:48
	s_and_saveexec_b32 s1, s0
	s_cbranch_execz .LBB3_98
; %bb.91:                               ;   in Loop: Header=BB3_33 Depth=2
	s_clause 0x1
	global_load_dwordx2 v[20:21], v1, s[12:13] offset:32 glc dlc
	global_load_dwordx2 v[10:11], v1, s[12:13] offset:40
	v_mov_b32_e32 v18, s18
	v_mov_b32_e32 v19, s19
	s_waitcnt vmcnt(0)
	v_readfirstlane_b32 s20, v10
	v_readfirstlane_b32 s21, v11
	s_and_b64 s[20:21], s[20:21], s[18:19]
	s_mul_i32 s9, s21, 24
	s_mul_hi_u32 s21, s20, 24
	s_mul_i32 s20, s20, 24
	s_add_i32 s21, s21, s9
	v_add_co_u32 v10, vcc_lo, v32, s20
	v_add_co_ci_u32_e64 v11, null, s21, v33, vcc_lo
	s_mov_b32 s9, exec_lo
	global_store_dwordx2 v[10:11], v[20:21], off
	s_waitcnt_vscnt null, 0x0
	global_atomic_cmpswap_x2 v[18:19], v1, v[18:21], s[12:13] offset:32 glc
	s_waitcnt vmcnt(0)
	v_cmpx_ne_u64_e64 v[18:19], v[20:21]
	s_cbranch_execz .LBB3_94
; %bb.92:                               ;   in Loop: Header=BB3_33 Depth=2
	s_mov_b32 s20, 0
.LBB3_93:                               ;   Parent Loop BB3_3 Depth=1
                                        ;     Parent Loop BB3_33 Depth=2
                                        ; =>    This Inner Loop Header: Depth=3
	v_mov_b32_e32 v16, s18
	v_mov_b32_e32 v17, s19
	s_sleep 1
	global_store_dwordx2 v[10:11], v[18:19], off
	s_waitcnt_vscnt null, 0x0
	global_atomic_cmpswap_x2 v[16:17], v1, v[16:19], s[12:13] offset:32 glc
	s_waitcnt vmcnt(0)
	v_cmp_eq_u64_e32 vcc_lo, v[16:17], v[18:19]
	v_mov_b32_e32 v19, v17
	v_mov_b32_e32 v18, v16
	s_or_b32 s20, vcc_lo, s20
	s_andn2_b32 exec_lo, exec_lo, s20
	s_cbranch_execnz .LBB3_93
.LBB3_94:                               ;   in Loop: Header=BB3_33 Depth=2
	s_or_b32 exec_lo, exec_lo, s9
	global_load_dwordx2 v[10:11], v1, s[12:13] offset:16
	s_mov_b32 s20, exec_lo
	s_mov_b32 s9, exec_lo
	v_mbcnt_lo_u32_b32 v0, s20, 0
	v_cmpx_eq_u32_e32 0, v0
	s_cbranch_execz .LBB3_96
; %bb.95:                               ;   in Loop: Header=BB3_33 Depth=2
	s_bcnt1_i32_b32 s20, s20
	v_mov_b32_e32 v0, s20
	s_waitcnt vmcnt(0)
	global_atomic_add_x2 v[10:11], v[0:1], off offset:8
.LBB3_96:                               ;   in Loop: Header=BB3_33 Depth=2
	s_or_b32 exec_lo, exec_lo, s9
	s_waitcnt vmcnt(0)
	global_load_dwordx2 v[16:17], v[10:11], off offset:16
	s_waitcnt vmcnt(0)
	v_cmp_eq_u64_e32 vcc_lo, 0, v[16:17]
	s_cbranch_vccnz .LBB3_98
; %bb.97:                               ;   in Loop: Header=BB3_33 Depth=2
	global_load_dword v0, v[10:11], off offset:24
	s_waitcnt vmcnt(0)
	v_readfirstlane_b32 s9, v0
	s_waitcnt_vscnt null, 0x0
	global_store_dwordx2 v[16:17], v[0:1], off
	s_and_b32 m0, s9, 0x7fffff
	s_sendmsg sendmsg(MSG_INTERRUPT)
.LBB3_98:                               ;   in Loop: Header=BB3_33 Depth=2
	s_or_b32 exec_lo, exec_lo, s1
	v_add_co_u32 v10, vcc_lo, v34, v39
	v_add_co_ci_u32_e64 v11, null, 0, v35, vcc_lo
	s_branch .LBB3_102
	.p2align	6
.LBB3_99:                               ;   in Loop: Header=BB3_102 Depth=3
	s_or_b32 exec_lo, exec_lo, s1
	v_readfirstlane_b32 s1, v0
	s_cmp_eq_u32 s1, 0
	s_cbranch_scc1 .LBB3_101
; %bb.100:                              ;   in Loop: Header=BB3_102 Depth=3
	s_sleep 1
	s_cbranch_execnz .LBB3_102
	s_branch .LBB3_104
	.p2align	6
.LBB3_101:                              ;   in Loop: Header=BB3_33 Depth=2
	s_branch .LBB3_104
.LBB3_102:                              ;   Parent Loop BB3_3 Depth=1
                                        ;     Parent Loop BB3_33 Depth=2
                                        ; =>    This Inner Loop Header: Depth=3
	v_mov_b32_e32 v0, 1
	s_and_saveexec_b32 s1, s0
	s_cbranch_execz .LBB3_99
; %bb.103:                              ;   in Loop: Header=BB3_102 Depth=3
	global_load_dword v0, v[5:6], off offset:20 glc dlc
	s_waitcnt vmcnt(0)
	buffer_gl1_inv
	buffer_gl0_inv
	v_and_b32_e32 v0, 1, v0
	s_branch .LBB3_99
.LBB3_104:                              ;   in Loop: Header=BB3_33 Depth=2
	global_load_dwordx2 v[16:17], v[10:11], off
	s_and_saveexec_b32 s9, s0
	s_cbranch_execz .LBB3_32
; %bb.105:                              ;   in Loop: Header=BB3_33 Depth=2
	s_clause 0x2
	global_load_dwordx2 v[5:6], v1, s[12:13] offset:40
	global_load_dwordx2 v[22:23], v1, s[12:13] offset:24 glc dlc
	global_load_dwordx2 v[10:11], v1, s[12:13]
	s_waitcnt vmcnt(2)
	v_readfirstlane_b32 s20, v5
	v_readfirstlane_b32 s21, v6
	s_add_u32 s27, s20, 1
	s_addc_u32 s28, s21, 0
	s_add_u32 s0, s27, s18
	s_addc_u32 s1, s28, s19
	s_cmp_eq_u64 s[0:1], 0
	s_cselect_b32 s1, s28, s1
	s_cselect_b32 s0, s27, s0
	v_mov_b32_e32 v21, s1
	s_and_b64 s[18:19], s[0:1], s[20:21]
	v_mov_b32_e32 v20, s0
	s_mul_i32 s19, s19, 24
	s_mul_hi_u32 s20, s18, 24
	s_mul_i32 s18, s18, 24
	s_add_i32 s20, s20, s19
	s_waitcnt vmcnt(0)
	v_add_co_u32 v5, vcc_lo, v10, s18
	v_add_co_ci_u32_e64 v6, null, s20, v11, vcc_lo
	global_store_dwordx2 v[5:6], v[22:23], off
	s_waitcnt_vscnt null, 0x0
	global_atomic_cmpswap_x2 v[20:21], v1, v[20:23], s[12:13] offset:24 glc
	s_waitcnt vmcnt(0)
	v_cmp_ne_u64_e32 vcc_lo, v[20:21], v[22:23]
	s_and_b32 exec_lo, exec_lo, vcc_lo
	s_cbranch_execz .LBB3_32
; %bb.106:                              ;   in Loop: Header=BB3_33 Depth=2
	s_mov_b32 s18, 0
.LBB3_107:                              ;   Parent Loop BB3_3 Depth=1
                                        ;     Parent Loop BB3_33 Depth=2
                                        ; =>    This Inner Loop Header: Depth=3
	v_mov_b32_e32 v18, s0
	v_mov_b32_e32 v19, s1
	s_sleep 1
	global_store_dwordx2 v[5:6], v[20:21], off
	s_waitcnt_vscnt null, 0x0
	global_atomic_cmpswap_x2 v[10:11], v1, v[18:21], s[12:13] offset:24 glc
	s_waitcnt vmcnt(0)
	v_cmp_eq_u64_e32 vcc_lo, v[10:11], v[20:21]
	v_mov_b32_e32 v21, v11
	v_mov_b32_e32 v20, v10
	s_or_b32 s18, vcc_lo, s18
	s_andn2_b32 exec_lo, exec_lo, s18
	s_cbranch_execnz .LBB3_107
	s_branch .LBB3_32
.LBB3_108:                              ;   in Loop: Header=BB3_3 Depth=1
	s_branch .LBB3_137
.LBB3_109:                              ;   in Loop: Header=BB3_3 Depth=1
                                        ; implicit-def: $vgpr16_vgpr17
	s_cbranch_execz .LBB3_137
; %bb.110:                              ;   in Loop: Header=BB3_3 Depth=1
	v_readfirstlane_b32 s0, v38
	v_mov_b32_e32 v5, 0
	v_mov_b32_e32 v6, 0
	v_cmp_eq_u32_e64 s0, s0, v38
	s_and_saveexec_b32 s1, s0
	s_cbranch_execz .LBB3_116
; %bb.111:                              ;   in Loop: Header=BB3_3 Depth=1
	global_load_dwordx2 v[18:19], v1, s[12:13] offset:24 glc dlc
	s_waitcnt vmcnt(0)
	buffer_gl1_inv
	buffer_gl0_inv
	s_clause 0x1
	global_load_dwordx2 v[5:6], v1, s[12:13] offset:40
	global_load_dwordx2 v[10:11], v1, s[12:13]
	s_mov_b32 s9, exec_lo
	s_waitcnt vmcnt(1)
	v_and_b32_e32 v0, v6, v19
	v_and_b32_e32 v5, v5, v18
	v_mul_lo_u32 v0, v0, 24
	v_mul_hi_u32 v6, v5, 24
	v_mul_lo_u32 v5, v5, 24
	v_add_nc_u32_e32 v0, v6, v0
	s_waitcnt vmcnt(0)
	v_add_co_u32 v5, vcc_lo, v10, v5
	v_add_co_ci_u32_e64 v6, null, v11, v0, vcc_lo
	global_load_dwordx2 v[16:17], v[5:6], off glc dlc
	s_waitcnt vmcnt(0)
	global_atomic_cmpswap_x2 v[5:6], v1, v[16:19], s[12:13] offset:24 glc
	s_waitcnt vmcnt(0)
	buffer_gl1_inv
	buffer_gl0_inv
	v_cmpx_ne_u64_e64 v[5:6], v[18:19]
	s_cbranch_execz .LBB3_115
; %bb.112:                              ;   in Loop: Header=BB3_3 Depth=1
	s_mov_b32 s10, 0
	.p2align	6
.LBB3_113:                              ;   Parent Loop BB3_3 Depth=1
                                        ; =>  This Inner Loop Header: Depth=2
	s_sleep 1
	s_clause 0x1
	global_load_dwordx2 v[10:11], v1, s[12:13] offset:40
	global_load_dwordx2 v[16:17], v1, s[12:13]
	v_mov_b32_e32 v19, v6
	v_mov_b32_e32 v18, v5
	s_waitcnt vmcnt(1)
	v_and_b32_e32 v0, v10, v18
	v_and_b32_e32 v7, v11, v19
	s_waitcnt vmcnt(0)
	v_mad_u64_u32 v[5:6], null, v0, 24, v[16:17]
	v_mov_b32_e32 v0, v6
	v_mad_u64_u32 v[6:7], null, v7, 24, v[0:1]
	global_load_dwordx2 v[16:17], v[5:6], off glc dlc
	s_waitcnt vmcnt(0)
	global_atomic_cmpswap_x2 v[5:6], v1, v[16:19], s[12:13] offset:24 glc
	s_waitcnt vmcnt(0)
	buffer_gl1_inv
	buffer_gl0_inv
	v_cmp_eq_u64_e32 vcc_lo, v[5:6], v[18:19]
	s_or_b32 s10, vcc_lo, s10
	s_andn2_b32 exec_lo, exec_lo, s10
	s_cbranch_execnz .LBB3_113
; %bb.114:                              ;   in Loop: Header=BB3_3 Depth=1
	s_or_b32 exec_lo, exec_lo, s10
.LBB3_115:                              ;   in Loop: Header=BB3_3 Depth=1
	s_or_b32 exec_lo, exec_lo, s9
.LBB3_116:                              ;   in Loop: Header=BB3_3 Depth=1
	s_or_b32 exec_lo, exec_lo, s1
	s_clause 0x1
	global_load_dwordx2 v[10:11], v1, s[12:13] offset:40
	global_load_dwordx4 v[18:21], v1, s[12:13]
	v_readfirstlane_b32 s15, v6
	v_readfirstlane_b32 s14, v5
	s_mov_b32 s1, exec_lo
	s_waitcnt vmcnt(1)
	v_readfirstlane_b32 s10, v10
	v_readfirstlane_b32 s11, v11
	s_and_b64 s[10:11], s[10:11], s[14:15]
	s_mul_i32 s9, s11, 24
	s_mul_hi_u32 s16, s10, 24
	s_mul_i32 s17, s10, 24
	s_add_i32 s16, s16, s9
	s_waitcnt vmcnt(0)
	v_add_co_u32 v5, vcc_lo, v18, s17
	v_add_co_ci_u32_e64 v6, null, s16, v19, vcc_lo
	s_and_saveexec_b32 s9, s0
	s_cbranch_execz .LBB3_118
; %bb.117:                              ;   in Loop: Header=BB3_3 Depth=1
	v_mov_b32_e32 v0, s1
	global_store_dwordx4 v[5:6], v[0:3], off offset:8
.LBB3_118:                              ;   in Loop: Header=BB3_3 Depth=1
	s_or_b32 exec_lo, exec_lo, s9
	s_lshl_b64 s[10:11], s[10:11], 12
	s_mov_b32 s9, s8
	v_add_co_u32 v7, vcc_lo, v20, s10
	v_add_co_ci_u32_e64 v20, null, s11, v21, vcc_lo
	s_mov_b32 s11, s8
	s_mov_b32 s10, s8
	v_and_or_b32 v14, 0xffffff1f, v14, 32
	v_mov_b32_e32 v16, v1
	v_mov_b32_e32 v17, v1
	v_readfirstlane_b32 s16, v7
	v_readfirstlane_b32 s17, v20
	v_mov_b32_e32 v24, s11
	v_mov_b32_e32 v23, s10
	;; [unrolled: 1-line block ×4, first 2 shown]
	global_store_dwordx4 v39, v[14:17], s[16:17]
	global_store_dwordx4 v39, v[21:24], s[16:17] offset:16
	global_store_dwordx4 v39, v[21:24], s[16:17] offset:32
	;; [unrolled: 1-line block ×3, first 2 shown]
	s_and_saveexec_b32 s1, s0
	s_cbranch_execz .LBB3_126
; %bb.119:                              ;   in Loop: Header=BB3_3 Depth=1
	s_clause 0x1
	global_load_dwordx2 v[23:24], v1, s[12:13] offset:32 glc dlc
	global_load_dwordx2 v[10:11], v1, s[12:13] offset:40
	v_mov_b32_e32 v21, s14
	v_mov_b32_e32 v22, s15
	s_waitcnt vmcnt(0)
	v_readfirstlane_b32 s10, v10
	v_readfirstlane_b32 s11, v11
	s_and_b64 s[10:11], s[10:11], s[14:15]
	s_mul_i32 s9, s11, 24
	s_mul_hi_u32 s11, s10, 24
	s_mul_i32 s10, s10, 24
	s_add_i32 s11, s11, s9
	v_add_co_u32 v10, vcc_lo, v18, s10
	v_add_co_ci_u32_e64 v11, null, s11, v19, vcc_lo
	s_mov_b32 s9, exec_lo
	global_store_dwordx2 v[10:11], v[23:24], off
	s_waitcnt_vscnt null, 0x0
	global_atomic_cmpswap_x2 v[16:17], v1, v[21:24], s[12:13] offset:32 glc
	s_waitcnt vmcnt(0)
	v_cmpx_ne_u64_e64 v[16:17], v[23:24]
	s_cbranch_execz .LBB3_122
; %bb.120:                              ;   in Loop: Header=BB3_3 Depth=1
	s_mov_b32 s10, 0
.LBB3_121:                              ;   Parent Loop BB3_3 Depth=1
                                        ; =>  This Inner Loop Header: Depth=2
	v_mov_b32_e32 v14, s14
	v_mov_b32_e32 v15, s15
	s_sleep 1
	global_store_dwordx2 v[10:11], v[16:17], off
	s_waitcnt_vscnt null, 0x0
	global_atomic_cmpswap_x2 v[14:15], v1, v[14:17], s[12:13] offset:32 glc
	s_waitcnt vmcnt(0)
	v_cmp_eq_u64_e32 vcc_lo, v[14:15], v[16:17]
	v_mov_b32_e32 v17, v15
	v_mov_b32_e32 v16, v14
	s_or_b32 s10, vcc_lo, s10
	s_andn2_b32 exec_lo, exec_lo, s10
	s_cbranch_execnz .LBB3_121
.LBB3_122:                              ;   in Loop: Header=BB3_3 Depth=1
	s_or_b32 exec_lo, exec_lo, s9
	global_load_dwordx2 v[10:11], v1, s[12:13] offset:16
	s_mov_b32 s10, exec_lo
	s_mov_b32 s9, exec_lo
	v_mbcnt_lo_u32_b32 v0, s10, 0
	v_cmpx_eq_u32_e32 0, v0
	s_cbranch_execz .LBB3_124
; %bb.123:                              ;   in Loop: Header=BB3_3 Depth=1
	s_bcnt1_i32_b32 s10, s10
	v_mov_b32_e32 v0, s10
	s_waitcnt vmcnt(0)
	global_atomic_add_x2 v[10:11], v[0:1], off offset:8
.LBB3_124:                              ;   in Loop: Header=BB3_3 Depth=1
	s_or_b32 exec_lo, exec_lo, s9
	s_waitcnt vmcnt(0)
	global_load_dwordx2 v[14:15], v[10:11], off offset:16
	s_waitcnt vmcnt(0)
	v_cmp_eq_u64_e32 vcc_lo, 0, v[14:15]
	s_cbranch_vccnz .LBB3_126
; %bb.125:                              ;   in Loop: Header=BB3_3 Depth=1
	global_load_dword v0, v[10:11], off offset:24
	s_waitcnt vmcnt(0)
	v_readfirstlane_b32 s9, v0
	s_waitcnt_vscnt null, 0x0
	global_store_dwordx2 v[14:15], v[0:1], off
	s_and_b32 m0, s9, 0x7fffff
	s_sendmsg sendmsg(MSG_INTERRUPT)
.LBB3_126:                              ;   in Loop: Header=BB3_3 Depth=1
	s_or_b32 exec_lo, exec_lo, s1
	v_add_co_u32 v10, vcc_lo, v7, v39
	v_add_co_ci_u32_e64 v11, null, 0, v20, vcc_lo
	s_branch .LBB3_130
	.p2align	6
.LBB3_127:                              ;   in Loop: Header=BB3_130 Depth=2
	s_or_b32 exec_lo, exec_lo, s1
	v_readfirstlane_b32 s1, v0
	s_cmp_eq_u32 s1, 0
	s_cbranch_scc1 .LBB3_129
; %bb.128:                              ;   in Loop: Header=BB3_130 Depth=2
	s_sleep 1
	s_cbranch_execnz .LBB3_130
	s_branch .LBB3_132
	.p2align	6
.LBB3_129:                              ;   in Loop: Header=BB3_3 Depth=1
	s_branch .LBB3_132
.LBB3_130:                              ;   Parent Loop BB3_3 Depth=1
                                        ; =>  This Inner Loop Header: Depth=2
	v_mov_b32_e32 v0, 1
	s_and_saveexec_b32 s1, s0
	s_cbranch_execz .LBB3_127
; %bb.131:                              ;   in Loop: Header=BB3_130 Depth=2
	global_load_dword v0, v[5:6], off offset:20 glc dlc
	s_waitcnt vmcnt(0)
	buffer_gl1_inv
	buffer_gl0_inv
	v_and_b32_e32 v0, 1, v0
	s_branch .LBB3_127
.LBB3_132:                              ;   in Loop: Header=BB3_3 Depth=1
	global_load_dwordx2 v[16:17], v[10:11], off
	s_and_saveexec_b32 s9, s0
	s_cbranch_execz .LBB3_136
; %bb.133:                              ;   in Loop: Header=BB3_3 Depth=1
	s_clause 0x2
	global_load_dwordx2 v[5:6], v1, s[12:13] offset:40
	global_load_dwordx2 v[22:23], v1, s[12:13] offset:24 glc dlc
	global_load_dwordx2 v[10:11], v1, s[12:13]
	s_waitcnt vmcnt(2)
	v_readfirstlane_b32 s10, v5
	v_readfirstlane_b32 s11, v6
	s_add_u32 s16, s10, 1
	s_addc_u32 s17, s11, 0
	s_add_u32 s0, s16, s14
	s_addc_u32 s1, s17, s15
	s_cmp_eq_u64 s[0:1], 0
	s_cselect_b32 s1, s17, s1
	s_cselect_b32 s0, s16, s0
	v_mov_b32_e32 v21, s1
	s_and_b64 s[10:11], s[0:1], s[10:11]
	v_mov_b32_e32 v20, s0
	s_mul_i32 s11, s11, 24
	s_mul_hi_u32 s14, s10, 24
	s_mul_i32 s10, s10, 24
	s_add_i32 s14, s14, s11
	s_waitcnt vmcnt(0)
	v_add_co_u32 v5, vcc_lo, v10, s10
	v_add_co_ci_u32_e64 v6, null, s14, v11, vcc_lo
	global_store_dwordx2 v[5:6], v[22:23], off
	s_waitcnt_vscnt null, 0x0
	global_atomic_cmpswap_x2 v[20:21], v1, v[20:23], s[12:13] offset:24 glc
	s_waitcnt vmcnt(0)
	v_cmp_ne_u64_e32 vcc_lo, v[20:21], v[22:23]
	s_and_b32 exec_lo, exec_lo, vcc_lo
	s_cbranch_execz .LBB3_136
; %bb.134:                              ;   in Loop: Header=BB3_3 Depth=1
	s_mov_b32 s10, 0
.LBB3_135:                              ;   Parent Loop BB3_3 Depth=1
                                        ; =>  This Inner Loop Header: Depth=2
	v_mov_b32_e32 v18, s0
	v_mov_b32_e32 v19, s1
	s_sleep 1
	global_store_dwordx2 v[5:6], v[20:21], off
	s_waitcnt_vscnt null, 0x0
	global_atomic_cmpswap_x2 v[10:11], v1, v[18:21], s[12:13] offset:24 glc
	s_waitcnt vmcnt(0)
	v_cmp_eq_u64_e32 vcc_lo, v[10:11], v[20:21]
	v_mov_b32_e32 v21, v11
	v_mov_b32_e32 v20, v10
	s_or_b32 s10, vcc_lo, s10
	s_andn2_b32 exec_lo, exec_lo, s10
	s_cbranch_execnz .LBB3_135
.LBB3_136:                              ;   in Loop: Header=BB3_3 Depth=1
	s_or_b32 exec_lo, exec_lo, s9
.LBB3_137:                              ;   in Loop: Header=BB3_3 Depth=1
	v_readfirstlane_b32 s0, v38
	v_mov_b32_e32 v5, 0
	v_mov_b32_e32 v6, 0
	v_cmp_eq_u32_e64 s0, s0, v38
	s_and_saveexec_b32 s1, s0
	s_cbranch_execz .LBB3_143
; %bb.138:                              ;   in Loop: Header=BB3_3 Depth=1
	global_load_dwordx2 v[20:21], v1, s[12:13] offset:24 glc dlc
	s_waitcnt vmcnt(0)
	buffer_gl1_inv
	buffer_gl0_inv
	s_clause 0x1
	global_load_dwordx2 v[5:6], v1, s[12:13] offset:40
	global_load_dwordx2 v[10:11], v1, s[12:13]
	s_mov_b32 s9, exec_lo
	s_waitcnt vmcnt(1)
	v_and_b32_e32 v0, v6, v21
	v_and_b32_e32 v5, v5, v20
	v_mul_lo_u32 v0, v0, 24
	v_mul_hi_u32 v6, v5, 24
	v_mul_lo_u32 v5, v5, 24
	v_add_nc_u32_e32 v0, v6, v0
	s_waitcnt vmcnt(0)
	v_add_co_u32 v5, vcc_lo, v10, v5
	v_add_co_ci_u32_e64 v6, null, v11, v0, vcc_lo
	global_load_dwordx2 v[18:19], v[5:6], off glc dlc
	s_waitcnt vmcnt(0)
	global_atomic_cmpswap_x2 v[5:6], v1, v[18:21], s[12:13] offset:24 glc
	s_waitcnt vmcnt(0)
	buffer_gl1_inv
	buffer_gl0_inv
	v_cmpx_ne_u64_e64 v[5:6], v[20:21]
	s_cbranch_execz .LBB3_142
; %bb.139:                              ;   in Loop: Header=BB3_3 Depth=1
	s_mov_b32 s10, 0
	.p2align	6
.LBB3_140:                              ;   Parent Loop BB3_3 Depth=1
                                        ; =>  This Inner Loop Header: Depth=2
	s_sleep 1
	s_clause 0x1
	global_load_dwordx2 v[10:11], v1, s[12:13] offset:40
	global_load_dwordx2 v[14:15], v1, s[12:13]
	v_mov_b32_e32 v21, v6
	v_mov_b32_e32 v20, v5
	s_waitcnt vmcnt(1)
	v_and_b32_e32 v0, v10, v20
	v_and_b32_e32 v7, v11, v21
	s_waitcnt vmcnt(0)
	v_mad_u64_u32 v[5:6], null, v0, 24, v[14:15]
	v_mov_b32_e32 v0, v6
	v_mad_u64_u32 v[6:7], null, v7, 24, v[0:1]
	global_load_dwordx2 v[18:19], v[5:6], off glc dlc
	s_waitcnt vmcnt(0)
	global_atomic_cmpswap_x2 v[5:6], v1, v[18:21], s[12:13] offset:24 glc
	s_waitcnt vmcnt(0)
	buffer_gl1_inv
	buffer_gl0_inv
	v_cmp_eq_u64_e32 vcc_lo, v[5:6], v[20:21]
	s_or_b32 s10, vcc_lo, s10
	s_andn2_b32 exec_lo, exec_lo, s10
	s_cbranch_execnz .LBB3_140
; %bb.141:                              ;   in Loop: Header=BB3_3 Depth=1
	s_or_b32 exec_lo, exec_lo, s10
.LBB3_142:                              ;   in Loop: Header=BB3_3 Depth=1
	s_or_b32 exec_lo, exec_lo, s9
.LBB3_143:                              ;   in Loop: Header=BB3_3 Depth=1
	s_or_b32 exec_lo, exec_lo, s1
	s_clause 0x1
	global_load_dwordx2 v[10:11], v1, s[12:13] offset:40
	global_load_dwordx4 v[20:23], v1, s[12:13]
	v_readfirstlane_b32 s15, v6
	v_readfirstlane_b32 s14, v5
	s_mov_b32 s1, exec_lo
	s_waitcnt vmcnt(1)
	v_readfirstlane_b32 s10, v10
	v_readfirstlane_b32 s11, v11
	s_and_b64 s[10:11], s[10:11], s[14:15]
	s_mul_i32 s9, s11, 24
	s_mul_hi_u32 s16, s10, 24
	s_mul_i32 s17, s10, 24
	s_add_i32 s16, s16, s9
	s_waitcnt vmcnt(0)
	v_add_co_u32 v5, vcc_lo, v20, s17
	v_add_co_ci_u32_e64 v6, null, s16, v21, vcc_lo
	s_and_saveexec_b32 s9, s0
	s_cbranch_execz .LBB3_145
; %bb.144:                              ;   in Loop: Header=BB3_3 Depth=1
	v_mov_b32_e32 v0, s1
	global_store_dwordx4 v[5:6], v[0:3], off offset:8
.LBB3_145:                              ;   in Loop: Header=BB3_3 Depth=1
	s_or_b32 exec_lo, exec_lo, s9
	s_lshl_b64 s[10:11], s[10:11], 12
	s_mov_b32 s9, s8
	v_add_co_u32 v7, vcc_lo, v22, s10
	v_add_co_ci_u32_e64 v22, null, s11, v23, vcc_lo
	s_mov_b32 s11, s8
	s_mov_b32 s10, s8
	v_and_or_b32 v16, 0xffffff1f, v16, 32
	v_mov_b32_e32 v18, v36
	v_mov_b32_e32 v19, v1
	v_readfirstlane_b32 s16, v7
	v_readfirstlane_b32 s17, v22
	v_mov_b32_e32 v26, s11
	v_mov_b32_e32 v25, s10
	;; [unrolled: 1-line block ×4, first 2 shown]
	global_store_dwordx4 v39, v[16:19], s[16:17]
	global_store_dwordx4 v39, v[23:26], s[16:17] offset:16
	global_store_dwordx4 v39, v[23:26], s[16:17] offset:32
	;; [unrolled: 1-line block ×3, first 2 shown]
	s_and_saveexec_b32 s1, s0
	s_cbranch_execz .LBB3_153
; %bb.146:                              ;   in Loop: Header=BB3_3 Depth=1
	s_clause 0x1
	global_load_dwordx2 v[18:19], v1, s[12:13] offset:32 glc dlc
	global_load_dwordx2 v[10:11], v1, s[12:13] offset:40
	v_mov_b32_e32 v16, s14
	v_mov_b32_e32 v17, s15
	s_waitcnt vmcnt(0)
	v_readfirstlane_b32 s10, v10
	v_readfirstlane_b32 s11, v11
	s_and_b64 s[10:11], s[10:11], s[14:15]
	s_mul_i32 s9, s11, 24
	s_mul_hi_u32 s11, s10, 24
	s_mul_i32 s10, s10, 24
	s_add_i32 s11, s11, s9
	v_add_co_u32 v10, vcc_lo, v20, s10
	v_add_co_ci_u32_e64 v11, null, s11, v21, vcc_lo
	s_mov_b32 s9, exec_lo
	global_store_dwordx2 v[10:11], v[18:19], off
	s_waitcnt_vscnt null, 0x0
	global_atomic_cmpswap_x2 v[16:17], v1, v[16:19], s[12:13] offset:32 glc
	s_waitcnt vmcnt(0)
	v_cmpx_ne_u64_e64 v[16:17], v[18:19]
	s_cbranch_execz .LBB3_149
; %bb.147:                              ;   in Loop: Header=BB3_3 Depth=1
	s_mov_b32 s10, 0
.LBB3_148:                              ;   Parent Loop BB3_3 Depth=1
                                        ; =>  This Inner Loop Header: Depth=2
	v_mov_b32_e32 v14, s14
	v_mov_b32_e32 v15, s15
	s_sleep 1
	global_store_dwordx2 v[10:11], v[16:17], off
	s_waitcnt_vscnt null, 0x0
	global_atomic_cmpswap_x2 v[14:15], v1, v[14:17], s[12:13] offset:32 glc
	s_waitcnt vmcnt(0)
	v_cmp_eq_u64_e32 vcc_lo, v[14:15], v[16:17]
	v_mov_b32_e32 v17, v15
	v_mov_b32_e32 v16, v14
	s_or_b32 s10, vcc_lo, s10
	s_andn2_b32 exec_lo, exec_lo, s10
	s_cbranch_execnz .LBB3_148
.LBB3_149:                              ;   in Loop: Header=BB3_3 Depth=1
	s_or_b32 exec_lo, exec_lo, s9
	global_load_dwordx2 v[10:11], v1, s[12:13] offset:16
	s_mov_b32 s10, exec_lo
	s_mov_b32 s9, exec_lo
	v_mbcnt_lo_u32_b32 v0, s10, 0
	v_cmpx_eq_u32_e32 0, v0
	s_cbranch_execz .LBB3_151
; %bb.150:                              ;   in Loop: Header=BB3_3 Depth=1
	s_bcnt1_i32_b32 s10, s10
	v_mov_b32_e32 v0, s10
	s_waitcnt vmcnt(0)
	global_atomic_add_x2 v[10:11], v[0:1], off offset:8
.LBB3_151:                              ;   in Loop: Header=BB3_3 Depth=1
	s_or_b32 exec_lo, exec_lo, s9
	s_waitcnt vmcnt(0)
	global_load_dwordx2 v[14:15], v[10:11], off offset:16
	s_waitcnt vmcnt(0)
	v_cmp_eq_u64_e32 vcc_lo, 0, v[14:15]
	s_cbranch_vccnz .LBB3_153
; %bb.152:                              ;   in Loop: Header=BB3_3 Depth=1
	global_load_dword v0, v[10:11], off offset:24
	s_waitcnt vmcnt(0)
	v_readfirstlane_b32 s9, v0
	s_waitcnt_vscnt null, 0x0
	global_store_dwordx2 v[14:15], v[0:1], off
	s_and_b32 m0, s9, 0x7fffff
	s_sendmsg sendmsg(MSG_INTERRUPT)
.LBB3_153:                              ;   in Loop: Header=BB3_3 Depth=1
	s_or_b32 exec_lo, exec_lo, s1
	v_add_co_u32 v10, vcc_lo, v7, v39
	v_add_co_ci_u32_e64 v11, null, 0, v22, vcc_lo
	s_branch .LBB3_157
	.p2align	6
.LBB3_154:                              ;   in Loop: Header=BB3_157 Depth=2
	s_or_b32 exec_lo, exec_lo, s1
	v_readfirstlane_b32 s1, v0
	s_cmp_eq_u32 s1, 0
	s_cbranch_scc1 .LBB3_156
; %bb.155:                              ;   in Loop: Header=BB3_157 Depth=2
	s_sleep 1
	s_cbranch_execnz .LBB3_157
	s_branch .LBB3_159
	.p2align	6
.LBB3_156:                              ;   in Loop: Header=BB3_3 Depth=1
	s_branch .LBB3_159
.LBB3_157:                              ;   Parent Loop BB3_3 Depth=1
                                        ; =>  This Inner Loop Header: Depth=2
	v_mov_b32_e32 v0, 1
	s_and_saveexec_b32 s1, s0
	s_cbranch_execz .LBB3_154
; %bb.158:                              ;   in Loop: Header=BB3_157 Depth=2
	global_load_dword v0, v[5:6], off offset:20 glc dlc
	s_waitcnt vmcnt(0)
	buffer_gl1_inv
	buffer_gl0_inv
	v_and_b32_e32 v0, 1, v0
	s_branch .LBB3_154
.LBB3_159:                              ;   in Loop: Header=BB3_3 Depth=1
	global_load_dwordx2 v[10:11], v[10:11], off
	s_and_saveexec_b32 s9, s0
	s_cbranch_execz .LBB3_163
; %bb.160:                              ;   in Loop: Header=BB3_3 Depth=1
	s_clause 0x2
	global_load_dwordx2 v[5:6], v1, s[12:13] offset:40
	global_load_dwordx2 v[18:19], v1, s[12:13] offset:24 glc dlc
	global_load_dwordx2 v[14:15], v1, s[12:13]
	s_waitcnt vmcnt(2)
	v_readfirstlane_b32 s10, v5
	v_readfirstlane_b32 s11, v6
	s_add_u32 s16, s10, 1
	s_addc_u32 s17, s11, 0
	s_add_u32 s0, s16, s14
	s_addc_u32 s1, s17, s15
	s_cmp_eq_u64 s[0:1], 0
	s_cselect_b32 s1, s17, s1
	s_cselect_b32 s0, s16, s0
	v_mov_b32_e32 v17, s1
	s_and_b64 s[10:11], s[0:1], s[10:11]
	v_mov_b32_e32 v16, s0
	s_mul_i32 s11, s11, 24
	s_mul_hi_u32 s14, s10, 24
	s_mul_i32 s10, s10, 24
	s_add_i32 s14, s14, s11
	s_waitcnt vmcnt(0)
	v_add_co_u32 v5, vcc_lo, v14, s10
	v_add_co_ci_u32_e64 v6, null, s14, v15, vcc_lo
	global_store_dwordx2 v[5:6], v[18:19], off
	s_waitcnt_vscnt null, 0x0
	global_atomic_cmpswap_x2 v[16:17], v1, v[16:19], s[12:13] offset:24 glc
	s_waitcnt vmcnt(0)
	v_cmp_ne_u64_e32 vcc_lo, v[16:17], v[18:19]
	s_and_b32 exec_lo, exec_lo, vcc_lo
	s_cbranch_execz .LBB3_163
; %bb.161:                              ;   in Loop: Header=BB3_3 Depth=1
	s_mov_b32 s10, 0
.LBB3_162:                              ;   Parent Loop BB3_3 Depth=1
                                        ; =>  This Inner Loop Header: Depth=2
	v_mov_b32_e32 v14, s0
	v_mov_b32_e32 v15, s1
	s_sleep 1
	global_store_dwordx2 v[5:6], v[16:17], off
	s_waitcnt_vscnt null, 0x0
	global_atomic_cmpswap_x2 v[14:15], v1, v[14:17], s[12:13] offset:24 glc
	s_waitcnt vmcnt(0)
	v_cmp_eq_u64_e32 vcc_lo, v[14:15], v[16:17]
	v_mov_b32_e32 v17, v15
	v_mov_b32_e32 v16, v14
	s_or_b32 s10, vcc_lo, s10
	s_andn2_b32 exec_lo, exec_lo, s10
	s_cbranch_execnz .LBB3_162
.LBB3_163:                              ;   in Loop: Header=BB3_3 Depth=1
	s_or_b32 exec_lo, exec_lo, s9
	v_readfirstlane_b32 s0, v38
	v_mov_b32_e32 v5, 0
	v_mov_b32_e32 v6, 0
	v_cmp_eq_u32_e64 s0, s0, v38
	s_and_saveexec_b32 s1, s0
	s_cbranch_execz .LBB3_169
; %bb.164:                              ;   in Loop: Header=BB3_3 Depth=1
	global_load_dwordx2 v[16:17], v1, s[12:13] offset:24 glc dlc
	s_waitcnt vmcnt(0)
	buffer_gl1_inv
	buffer_gl0_inv
	s_clause 0x1
	global_load_dwordx2 v[5:6], v1, s[12:13] offset:40
	global_load_dwordx2 v[14:15], v1, s[12:13]
	s_mov_b32 s9, exec_lo
	s_waitcnt vmcnt(1)
	v_and_b32_e32 v0, v6, v17
	v_and_b32_e32 v5, v5, v16
	v_mul_lo_u32 v0, v0, 24
	v_mul_hi_u32 v6, v5, 24
	v_mul_lo_u32 v5, v5, 24
	v_add_nc_u32_e32 v0, v6, v0
	s_waitcnt vmcnt(0)
	v_add_co_u32 v5, vcc_lo, v14, v5
	v_add_co_ci_u32_e64 v6, null, v15, v0, vcc_lo
	global_load_dwordx2 v[14:15], v[5:6], off glc dlc
	s_waitcnt vmcnt(0)
	global_atomic_cmpswap_x2 v[5:6], v1, v[14:17], s[12:13] offset:24 glc
	s_waitcnt vmcnt(0)
	buffer_gl1_inv
	buffer_gl0_inv
	v_cmpx_ne_u64_e64 v[5:6], v[16:17]
	s_cbranch_execz .LBB3_168
; %bb.165:                              ;   in Loop: Header=BB3_3 Depth=1
	s_mov_b32 s10, 0
	.p2align	6
.LBB3_166:                              ;   Parent Loop BB3_3 Depth=1
                                        ; =>  This Inner Loop Header: Depth=2
	s_sleep 1
	s_clause 0x1
	global_load_dwordx2 v[14:15], v1, s[12:13] offset:40
	global_load_dwordx2 v[18:19], v1, s[12:13]
	v_mov_b32_e32 v17, v6
	v_mov_b32_e32 v16, v5
	s_waitcnt vmcnt(1)
	v_and_b32_e32 v0, v14, v16
	v_and_b32_e32 v7, v15, v17
	s_waitcnt vmcnt(0)
	v_mad_u64_u32 v[5:6], null, v0, 24, v[18:19]
	v_mov_b32_e32 v0, v6
	v_mad_u64_u32 v[6:7], null, v7, 24, v[0:1]
	global_load_dwordx2 v[14:15], v[5:6], off glc dlc
	s_waitcnt vmcnt(0)
	global_atomic_cmpswap_x2 v[5:6], v1, v[14:17], s[12:13] offset:24 glc
	s_waitcnt vmcnt(0)
	buffer_gl1_inv
	buffer_gl0_inv
	v_cmp_eq_u64_e32 vcc_lo, v[5:6], v[16:17]
	s_or_b32 s10, vcc_lo, s10
	s_andn2_b32 exec_lo, exec_lo, s10
	s_cbranch_execnz .LBB3_166
; %bb.167:                              ;   in Loop: Header=BB3_3 Depth=1
	s_or_b32 exec_lo, exec_lo, s10
.LBB3_168:                              ;   in Loop: Header=BB3_3 Depth=1
	s_or_b32 exec_lo, exec_lo, s9
.LBB3_169:                              ;   in Loop: Header=BB3_3 Depth=1
	s_or_b32 exec_lo, exec_lo, s1
	s_clause 0x1
	global_load_dwordx2 v[18:19], v1, s[12:13] offset:40
	global_load_dwordx4 v[14:17], v1, s[12:13]
	v_readfirstlane_b32 s15, v6
	v_readfirstlane_b32 s14, v5
	s_mov_b32 s1, exec_lo
	s_waitcnt vmcnt(1)
	v_readfirstlane_b32 s10, v18
	v_readfirstlane_b32 s11, v19
	s_and_b64 s[10:11], s[10:11], s[14:15]
	s_mul_i32 s9, s11, 24
	s_mul_hi_u32 s16, s10, 24
	s_mul_i32 s17, s10, 24
	s_add_i32 s16, s16, s9
	s_waitcnt vmcnt(0)
	v_add_co_u32 v5, vcc_lo, v14, s17
	v_add_co_ci_u32_e64 v6, null, s16, v15, vcc_lo
	s_and_saveexec_b32 s9, s0
	s_cbranch_execz .LBB3_171
; %bb.170:                              ;   in Loop: Header=BB3_3 Depth=1
	v_mov_b32_e32 v0, s1
	global_store_dwordx4 v[5:6], v[0:3], off offset:8
.LBB3_171:                              ;   in Loop: Header=BB3_3 Depth=1
	s_or_b32 exec_lo, exec_lo, s9
	s_lshl_b64 s[10:11], s[10:11], 12
	s_mov_b32 s9, s8
	v_add_co_u32 v7, vcc_lo, v16, s10
	v_add_co_ci_u32_e64 v16, null, s11, v17, vcc_lo
	s_mov_b32 s11, s8
	s_mov_b32 s10, s8
	v_and_or_b32 v10, 0xffffff1f, v10, 32
	v_readfirstlane_b32 s16, v7
	v_readfirstlane_b32 s17, v16
	v_mov_b32_e32 v20, s11
	v_mov_b32_e32 v19, s10
	;; [unrolled: 1-line block ×4, first 2 shown]
	global_store_dwordx4 v39, v[10:13], s[16:17]
	global_store_dwordx4 v39, v[17:20], s[16:17] offset:16
	global_store_dwordx4 v39, v[17:20], s[16:17] offset:32
	;; [unrolled: 1-line block ×3, first 2 shown]
	s_and_saveexec_b32 s1, s0
	s_cbranch_execz .LBB3_179
; %bb.172:                              ;   in Loop: Header=BB3_3 Depth=1
	s_clause 0x1
	global_load_dwordx2 v[19:20], v1, s[12:13] offset:32 glc dlc
	global_load_dwordx2 v[10:11], v1, s[12:13] offset:40
	v_mov_b32_e32 v17, s14
	v_mov_b32_e32 v18, s15
	s_waitcnt vmcnt(0)
	v_readfirstlane_b32 s10, v10
	v_readfirstlane_b32 s11, v11
	s_and_b64 s[10:11], s[10:11], s[14:15]
	s_mul_i32 s9, s11, 24
	s_mul_hi_u32 s11, s10, 24
	s_mul_i32 s10, s10, 24
	s_add_i32 s11, s11, s9
	v_add_co_u32 v14, vcc_lo, v14, s10
	v_add_co_ci_u32_e64 v15, null, s11, v15, vcc_lo
	s_mov_b32 s9, exec_lo
	global_store_dwordx2 v[14:15], v[19:20], off
	s_waitcnt_vscnt null, 0x0
	global_atomic_cmpswap_x2 v[12:13], v1, v[17:20], s[12:13] offset:32 glc
	s_waitcnt vmcnt(0)
	v_cmpx_ne_u64_e64 v[12:13], v[19:20]
	s_cbranch_execz .LBB3_175
; %bb.173:                              ;   in Loop: Header=BB3_3 Depth=1
	s_mov_b32 s10, 0
.LBB3_174:                              ;   Parent Loop BB3_3 Depth=1
                                        ; =>  This Inner Loop Header: Depth=2
	v_mov_b32_e32 v10, s14
	v_mov_b32_e32 v11, s15
	s_sleep 1
	global_store_dwordx2 v[14:15], v[12:13], off
	s_waitcnt_vscnt null, 0x0
	global_atomic_cmpswap_x2 v[10:11], v1, v[10:13], s[12:13] offset:32 glc
	s_waitcnt vmcnt(0)
	v_cmp_eq_u64_e32 vcc_lo, v[10:11], v[12:13]
	v_mov_b32_e32 v13, v11
	v_mov_b32_e32 v12, v10
	s_or_b32 s10, vcc_lo, s10
	s_andn2_b32 exec_lo, exec_lo, s10
	s_cbranch_execnz .LBB3_174
.LBB3_175:                              ;   in Loop: Header=BB3_3 Depth=1
	s_or_b32 exec_lo, exec_lo, s9
	global_load_dwordx2 v[10:11], v1, s[12:13] offset:16
	s_mov_b32 s10, exec_lo
	s_mov_b32 s9, exec_lo
	v_mbcnt_lo_u32_b32 v0, s10, 0
	v_cmpx_eq_u32_e32 0, v0
	s_cbranch_execz .LBB3_177
; %bb.176:                              ;   in Loop: Header=BB3_3 Depth=1
	s_bcnt1_i32_b32 s10, s10
	v_mov_b32_e32 v0, s10
	s_waitcnt vmcnt(0)
	global_atomic_add_x2 v[10:11], v[0:1], off offset:8
.LBB3_177:                              ;   in Loop: Header=BB3_3 Depth=1
	s_or_b32 exec_lo, exec_lo, s9
	s_waitcnt vmcnt(0)
	global_load_dwordx2 v[12:13], v[10:11], off offset:16
	s_waitcnt vmcnt(0)
	v_cmp_eq_u64_e32 vcc_lo, 0, v[12:13]
	s_cbranch_vccnz .LBB3_179
; %bb.178:                              ;   in Loop: Header=BB3_3 Depth=1
	global_load_dword v0, v[10:11], off offset:24
	s_waitcnt vmcnt(0)
	v_readfirstlane_b32 s9, v0
	s_waitcnt_vscnt null, 0x0
	global_store_dwordx2 v[12:13], v[0:1], off
	s_and_b32 m0, s9, 0x7fffff
	s_sendmsg sendmsg(MSG_INTERRUPT)
.LBB3_179:                              ;   in Loop: Header=BB3_3 Depth=1
	s_or_b32 exec_lo, exec_lo, s1
	v_add_co_u32 v10, vcc_lo, v7, v39
	v_add_co_ci_u32_e64 v11, null, 0, v16, vcc_lo
	s_branch .LBB3_183
	.p2align	6
.LBB3_180:                              ;   in Loop: Header=BB3_183 Depth=2
	s_or_b32 exec_lo, exec_lo, s1
	v_readfirstlane_b32 s1, v0
	s_cmp_eq_u32 s1, 0
	s_cbranch_scc1 .LBB3_182
; %bb.181:                              ;   in Loop: Header=BB3_183 Depth=2
	s_sleep 1
	s_cbranch_execnz .LBB3_183
	s_branch .LBB3_185
	.p2align	6
.LBB3_182:                              ;   in Loop: Header=BB3_3 Depth=1
	s_branch .LBB3_185
.LBB3_183:                              ;   Parent Loop BB3_3 Depth=1
                                        ; =>  This Inner Loop Header: Depth=2
	v_mov_b32_e32 v0, 1
	s_and_saveexec_b32 s1, s0
	s_cbranch_execz .LBB3_180
; %bb.184:                              ;   in Loop: Header=BB3_183 Depth=2
	global_load_dword v0, v[5:6], off offset:20 glc dlc
	s_waitcnt vmcnt(0)
	buffer_gl1_inv
	buffer_gl0_inv
	v_and_b32_e32 v0, 1, v0
	s_branch .LBB3_180
.LBB3_185:                              ;   in Loop: Header=BB3_3 Depth=1
	global_load_dwordx2 v[6:7], v[10:11], off
	s_and_saveexec_b32 s9, s0
	s_cbranch_execz .LBB3_189
; %bb.186:                              ;   in Loop: Header=BB3_3 Depth=1
	s_clause 0x2
	global_load_dwordx2 v[10:11], v1, s[12:13] offset:40
	global_load_dwordx2 v[18:19], v1, s[12:13] offset:24 glc dlc
	global_load_dwordx2 v[12:13], v1, s[12:13]
	s_waitcnt vmcnt(2)
	v_readfirstlane_b32 s10, v10
	v_readfirstlane_b32 s11, v11
	s_add_u32 s16, s10, 1
	s_addc_u32 s17, s11, 0
	s_add_u32 s0, s16, s14
	s_addc_u32 s1, s17, s15
	s_cmp_eq_u64 s[0:1], 0
	s_cselect_b32 s1, s17, s1
	s_cselect_b32 s0, s16, s0
	v_mov_b32_e32 v17, s1
	s_and_b64 s[10:11], s[0:1], s[10:11]
	v_mov_b32_e32 v16, s0
	s_mul_i32 s11, s11, 24
	s_mul_hi_u32 s14, s10, 24
	s_mul_i32 s10, s10, 24
	s_add_i32 s14, s14, s11
	s_waitcnt vmcnt(0)
	v_add_co_u32 v14, vcc_lo, v12, s10
	v_add_co_ci_u32_e64 v15, null, s14, v13, vcc_lo
	global_store_dwordx2 v[14:15], v[18:19], off
	s_waitcnt_vscnt null, 0x0
	global_atomic_cmpswap_x2 v[12:13], v1, v[16:19], s[12:13] offset:24 glc
	s_waitcnt vmcnt(0)
	v_cmp_ne_u64_e32 vcc_lo, v[12:13], v[18:19]
	s_and_b32 exec_lo, exec_lo, vcc_lo
	s_cbranch_execz .LBB3_189
; %bb.187:                              ;   in Loop: Header=BB3_3 Depth=1
	s_mov_b32 s10, 0
.LBB3_188:                              ;   Parent Loop BB3_3 Depth=1
                                        ; =>  This Inner Loop Header: Depth=2
	v_mov_b32_e32 v10, s0
	v_mov_b32_e32 v11, s1
	s_sleep 1
	global_store_dwordx2 v[14:15], v[12:13], off
	s_waitcnt_vscnt null, 0x0
	global_atomic_cmpswap_x2 v[10:11], v1, v[10:13], s[12:13] offset:24 glc
	s_waitcnt vmcnt(0)
	v_cmp_eq_u64_e32 vcc_lo, v[10:11], v[12:13]
	v_mov_b32_e32 v13, v11
	v_mov_b32_e32 v12, v10
	s_or_b32 s10, vcc_lo, s10
	s_andn2_b32 exec_lo, exec_lo, s10
	s_cbranch_execnz .LBB3_188
.LBB3_189:                              ;   in Loop: Header=BB3_3 Depth=1
	s_or_b32 exec_lo, exec_lo, s9
	v_readfirstlane_b32 s0, v38
	v_mov_b32_e32 v14, 0
	v_mov_b32_e32 v15, 0
	v_cmp_eq_u32_e64 s0, s0, v38
	s_and_saveexec_b32 s1, s0
	s_cbranch_execz .LBB3_195
; %bb.190:                              ;   in Loop: Header=BB3_3 Depth=1
	global_load_dwordx2 v[12:13], v1, s[12:13] offset:24 glc dlc
	s_waitcnt vmcnt(0)
	buffer_gl1_inv
	buffer_gl0_inv
	s_clause 0x1
	global_load_dwordx2 v[10:11], v1, s[12:13] offset:40
	global_load_dwordx2 v[14:15], v1, s[12:13]
	s_mov_b32 s9, exec_lo
	s_waitcnt vmcnt(1)
	v_and_b32_e32 v0, v11, v13
	v_and_b32_e32 v5, v10, v12
	v_mul_lo_u32 v0, v0, 24
	v_mul_hi_u32 v10, v5, 24
	v_mul_lo_u32 v5, v5, 24
	v_add_nc_u32_e32 v0, v10, v0
	s_waitcnt vmcnt(0)
	v_add_co_u32 v10, vcc_lo, v14, v5
	v_add_co_ci_u32_e64 v11, null, v15, v0, vcc_lo
	global_load_dwordx2 v[10:11], v[10:11], off glc dlc
	s_waitcnt vmcnt(0)
	global_atomic_cmpswap_x2 v[14:15], v1, v[10:13], s[12:13] offset:24 glc
	s_waitcnt vmcnt(0)
	buffer_gl1_inv
	buffer_gl0_inv
	v_cmpx_ne_u64_e64 v[14:15], v[12:13]
	s_cbranch_execz .LBB3_194
; %bb.191:                              ;   in Loop: Header=BB3_3 Depth=1
	s_mov_b32 s10, 0
	.p2align	6
.LBB3_192:                              ;   Parent Loop BB3_3 Depth=1
                                        ; =>  This Inner Loop Header: Depth=2
	s_sleep 1
	s_clause 0x1
	global_load_dwordx2 v[10:11], v1, s[12:13] offset:40
	global_load_dwordx2 v[16:17], v1, s[12:13]
	v_mov_b32_e32 v12, v14
	v_mov_b32_e32 v13, v15
	s_waitcnt vmcnt(1)
	v_and_b32_e32 v0, v10, v12
	v_and_b32_e32 v5, v11, v13
	s_waitcnt vmcnt(0)
	v_mad_u64_u32 v[14:15], null, v0, 24, v[16:17]
	v_mov_b32_e32 v0, v15
	v_mad_u64_u32 v[10:11], null, v5, 24, v[0:1]
	v_mov_b32_e32 v15, v10
	global_load_dwordx2 v[10:11], v[14:15], off glc dlc
	s_waitcnt vmcnt(0)
	global_atomic_cmpswap_x2 v[14:15], v1, v[10:13], s[12:13] offset:24 glc
	s_waitcnt vmcnt(0)
	buffer_gl1_inv
	buffer_gl0_inv
	v_cmp_eq_u64_e32 vcc_lo, v[14:15], v[12:13]
	s_or_b32 s10, vcc_lo, s10
	s_andn2_b32 exec_lo, exec_lo, s10
	s_cbranch_execnz .LBB3_192
; %bb.193:                              ;   in Loop: Header=BB3_3 Depth=1
	s_or_b32 exec_lo, exec_lo, s10
.LBB3_194:                              ;   in Loop: Header=BB3_3 Depth=1
	s_or_b32 exec_lo, exec_lo, s9
.LBB3_195:                              ;   in Loop: Header=BB3_3 Depth=1
	s_or_b32 exec_lo, exec_lo, s1
	s_clause 0x1
	global_load_dwordx2 v[16:17], v1, s[12:13] offset:40
	global_load_dwordx4 v[10:13], v1, s[12:13]
	v_readfirstlane_b32 s15, v15
	v_readfirstlane_b32 s14, v14
	s_mov_b32 s1, exec_lo
	s_waitcnt vmcnt(1)
	v_readfirstlane_b32 s10, v16
	v_readfirstlane_b32 s11, v17
	s_and_b64 s[10:11], s[10:11], s[14:15]
	s_mul_i32 s9, s11, 24
	s_mul_hi_u32 s16, s10, 24
	s_mul_i32 s17, s10, 24
	s_add_i32 s16, s16, s9
	s_waitcnt vmcnt(0)
	v_add_co_u32 v14, vcc_lo, v10, s17
	v_add_co_ci_u32_e64 v15, null, s16, v11, vcc_lo
	s_and_saveexec_b32 s9, s0
	s_cbranch_execz .LBB3_197
; %bb.196:                              ;   in Loop: Header=BB3_3 Depth=1
	v_mov_b32_e32 v0, s1
	global_store_dwordx4 v[14:15], v[0:3], off offset:8
.LBB3_197:                              ;   in Loop: Header=BB3_3 Depth=1
	s_or_b32 exec_lo, exec_lo, s9
	s_lshl_b64 s[10:11], s[10:11], 12
	s_mov_b32 s9, s8
	v_add_co_u32 v0, vcc_lo, v12, s10
	v_add_co_ci_u32_e64 v5, null, s11, v13, vcc_lo
	s_mov_b32 s11, s8
	s_mov_b32 s10, s8
	v_and_or_b32 v6, 0xffffff1d, v6, 34
	v_readfirstlane_b32 s16, v0
	v_readfirstlane_b32 s17, v5
	v_mov_b32_e32 v19, s11
	v_mov_b32_e32 v18, s10
	;; [unrolled: 1-line block ×4, first 2 shown]
	global_store_dwordx4 v39, v[6:9], s[16:17]
	global_store_dwordx4 v39, v[16:19], s[16:17] offset:16
	global_store_dwordx4 v39, v[16:19], s[16:17] offset:32
	;; [unrolled: 1-line block ×3, first 2 shown]
	s_and_saveexec_b32 s1, s0
	s_cbranch_execz .LBB3_205
; %bb.198:                              ;   in Loop: Header=BB3_3 Depth=1
	s_clause 0x1
	global_load_dwordx2 v[18:19], v1, s[12:13] offset:32 glc dlc
	global_load_dwordx2 v[5:6], v1, s[12:13] offset:40
	v_mov_b32_e32 v16, s14
	v_mov_b32_e32 v17, s15
	s_waitcnt vmcnt(0)
	v_readfirstlane_b32 s10, v5
	v_readfirstlane_b32 s11, v6
	s_and_b64 s[10:11], s[10:11], s[14:15]
	s_mul_i32 s9, s11, 24
	s_mul_hi_u32 s11, s10, 24
	s_mul_i32 s10, s10, 24
	s_add_i32 s11, s11, s9
	v_add_co_u32 v9, vcc_lo, v10, s10
	v_add_co_ci_u32_e64 v10, null, s11, v11, vcc_lo
	s_mov_b32 s9, exec_lo
	global_store_dwordx2 v[9:10], v[18:19], off
	s_waitcnt_vscnt null, 0x0
	global_atomic_cmpswap_x2 v[7:8], v1, v[16:19], s[12:13] offset:32 glc
	s_waitcnt vmcnt(0)
	v_cmpx_ne_u64_e64 v[7:8], v[18:19]
	s_cbranch_execz .LBB3_201
; %bb.199:                              ;   in Loop: Header=BB3_3 Depth=1
	s_mov_b32 s10, 0
.LBB3_200:                              ;   Parent Loop BB3_3 Depth=1
                                        ; =>  This Inner Loop Header: Depth=2
	v_mov_b32_e32 v5, s14
	v_mov_b32_e32 v6, s15
	s_sleep 1
	global_store_dwordx2 v[9:10], v[7:8], off
	s_waitcnt_vscnt null, 0x0
	global_atomic_cmpswap_x2 v[5:6], v1, v[5:8], s[12:13] offset:32 glc
	s_waitcnt vmcnt(0)
	v_cmp_eq_u64_e32 vcc_lo, v[5:6], v[7:8]
	v_mov_b32_e32 v8, v6
	v_mov_b32_e32 v7, v5
	s_or_b32 s10, vcc_lo, s10
	s_andn2_b32 exec_lo, exec_lo, s10
	s_cbranch_execnz .LBB3_200
.LBB3_201:                              ;   in Loop: Header=BB3_3 Depth=1
	s_or_b32 exec_lo, exec_lo, s9
	global_load_dwordx2 v[5:6], v1, s[12:13] offset:16
	s_mov_b32 s10, exec_lo
	s_mov_b32 s9, exec_lo
	v_mbcnt_lo_u32_b32 v0, s10, 0
	v_cmpx_eq_u32_e32 0, v0
	s_cbranch_execz .LBB3_203
; %bb.202:                              ;   in Loop: Header=BB3_3 Depth=1
	s_bcnt1_i32_b32 s10, s10
	v_mov_b32_e32 v0, s10
	s_waitcnt vmcnt(0)
	global_atomic_add_x2 v[5:6], v[0:1], off offset:8
.LBB3_203:                              ;   in Loop: Header=BB3_3 Depth=1
	s_or_b32 exec_lo, exec_lo, s9
	s_waitcnt vmcnt(0)
	global_load_dwordx2 v[7:8], v[5:6], off offset:16
	s_waitcnt vmcnt(0)
	v_cmp_eq_u64_e32 vcc_lo, 0, v[7:8]
	s_cbranch_vccnz .LBB3_205
; %bb.204:                              ;   in Loop: Header=BB3_3 Depth=1
	global_load_dword v0, v[5:6], off offset:24
	s_waitcnt vmcnt(0)
	v_readfirstlane_b32 s9, v0
	s_waitcnt_vscnt null, 0x0
	global_store_dwordx2 v[7:8], v[0:1], off
	s_and_b32 m0, s9, 0x7fffff
	s_sendmsg sendmsg(MSG_INTERRUPT)
.LBB3_205:                              ;   in Loop: Header=BB3_3 Depth=1
	s_or_b32 exec_lo, exec_lo, s1
	s_branch .LBB3_209
	.p2align	6
.LBB3_206:                              ;   in Loop: Header=BB3_209 Depth=2
	s_or_b32 exec_lo, exec_lo, s1
	v_readfirstlane_b32 s1, v0
	s_cmp_eq_u32 s1, 0
	s_cbranch_scc1 .LBB3_208
; %bb.207:                              ;   in Loop: Header=BB3_209 Depth=2
	s_sleep 1
	s_cbranch_execnz .LBB3_209
	s_branch .LBB3_211
	.p2align	6
.LBB3_208:                              ;   in Loop: Header=BB3_3 Depth=1
	s_branch .LBB3_211
.LBB3_209:                              ;   Parent Loop BB3_3 Depth=1
                                        ; =>  This Inner Loop Header: Depth=2
	v_mov_b32_e32 v0, 1
	s_and_saveexec_b32 s1, s0
	s_cbranch_execz .LBB3_206
; %bb.210:                              ;   in Loop: Header=BB3_209 Depth=2
	global_load_dword v0, v[14:15], off offset:20 glc dlc
	s_waitcnt vmcnt(0)
	buffer_gl1_inv
	buffer_gl0_inv
	v_and_b32_e32 v0, 1, v0
	s_branch .LBB3_206
.LBB3_211:                              ;   in Loop: Header=BB3_3 Depth=1
	s_and_b32 exec_lo, exec_lo, s0
	s_cbranch_execz .LBB3_2
; %bb.212:                              ;   in Loop: Header=BB3_3 Depth=1
	s_clause 0x2
	global_load_dwordx2 v[5:6], v1, s[12:13] offset:40
	global_load_dwordx2 v[13:14], v1, s[12:13] offset:24 glc dlc
	global_load_dwordx2 v[7:8], v1, s[12:13]
	s_waitcnt vmcnt(2)
	v_readfirstlane_b32 s10, v5
	v_readfirstlane_b32 s11, v6
	s_add_u32 s9, s10, 1
	s_addc_u32 s16, s11, 0
	s_add_u32 s0, s9, s14
	s_addc_u32 s1, s16, s15
	s_cmp_eq_u64 s[0:1], 0
	s_cselect_b32 s1, s16, s1
	s_cselect_b32 s0, s9, s0
	v_mov_b32_e32 v12, s1
	s_and_b64 s[10:11], s[0:1], s[10:11]
	v_mov_b32_e32 v11, s0
	s_mul_i32 s9, s11, 24
	s_mul_hi_u32 s11, s10, 24
	s_mul_i32 s10, s10, 24
	s_add_i32 s11, s11, s9
	s_waitcnt vmcnt(0)
	v_add_co_u32 v9, vcc_lo, v7, s10
	v_add_co_ci_u32_e64 v10, null, s11, v8, vcc_lo
	global_store_dwordx2 v[9:10], v[13:14], off
	s_waitcnt_vscnt null, 0x0
	global_atomic_cmpswap_x2 v[7:8], v1, v[11:14], s[12:13] offset:24 glc
	s_waitcnt vmcnt(0)
	v_cmp_ne_u64_e32 vcc_lo, v[7:8], v[13:14]
	s_and_b32 exec_lo, exec_lo, vcc_lo
	s_cbranch_execz .LBB3_2
; %bb.213:                              ;   in Loop: Header=BB3_3 Depth=1
	s_mov_b32 s9, 0
.LBB3_214:                              ;   Parent Loop BB3_3 Depth=1
                                        ; =>  This Inner Loop Header: Depth=2
	v_mov_b32_e32 v5, s0
	v_mov_b32_e32 v6, s1
	s_sleep 1
	global_store_dwordx2 v[9:10], v[7:8], off
	s_waitcnt_vscnt null, 0x0
	global_atomic_cmpswap_x2 v[5:6], v1, v[5:8], s[12:13] offset:24 glc
	s_waitcnt vmcnt(0)
	v_cmp_eq_u64_e32 vcc_lo, v[5:6], v[7:8]
	v_mov_b32_e32 v8, v6
	v_mov_b32_e32 v7, v5
	s_or_b32 s9, vcc_lo, s9
	s_andn2_b32 exec_lo, exec_lo, s9
	s_cbranch_execnz .LBB3_214
	s_branch .LBB3_2
.LBB3_215:
	s_endpgm
	.section	.rodata,"a",@progbits
	.p2align	6, 0x0
	.amdhsa_kernel _Z10vec_verifyIdEvPT_S0_i
		.amdhsa_group_segment_fixed_size 0
		.amdhsa_private_segment_fixed_size 0
		.amdhsa_kernarg_size 280
		.amdhsa_user_sgpr_count 6
		.amdhsa_user_sgpr_private_segment_buffer 1
		.amdhsa_user_sgpr_dispatch_ptr 0
		.amdhsa_user_sgpr_queue_ptr 0
		.amdhsa_user_sgpr_kernarg_segment_ptr 1
		.amdhsa_user_sgpr_dispatch_id 0
		.amdhsa_user_sgpr_flat_scratch_init 0
		.amdhsa_user_sgpr_private_segment_size 0
		.amdhsa_wavefront_size32 1
		.amdhsa_uses_dynamic_stack 0
		.amdhsa_system_sgpr_private_segment_wavefront_offset 0
		.amdhsa_system_sgpr_workgroup_id_x 1
		.amdhsa_system_sgpr_workgroup_id_y 0
		.amdhsa_system_sgpr_workgroup_id_z 0
		.amdhsa_system_sgpr_workgroup_info 0
		.amdhsa_system_vgpr_workitem_id 0
		.amdhsa_next_free_vgpr 40
		.amdhsa_next_free_sgpr 30
		.amdhsa_reserve_vcc 1
		.amdhsa_reserve_flat_scratch 0
		.amdhsa_float_round_mode_32 0
		.amdhsa_float_round_mode_16_64 0
		.amdhsa_float_denorm_mode_32 3
		.amdhsa_float_denorm_mode_16_64 3
		.amdhsa_dx10_clamp 1
		.amdhsa_ieee_mode 1
		.amdhsa_fp16_overflow 0
		.amdhsa_workgroup_processor_mode 1
		.amdhsa_memory_ordered 1
		.amdhsa_forward_progress 1
		.amdhsa_shared_vgpr_count 0
		.amdhsa_exception_fp_ieee_invalid_op 0
		.amdhsa_exception_fp_denorm_src 0
		.amdhsa_exception_fp_ieee_div_zero 0
		.amdhsa_exception_fp_ieee_overflow 0
		.amdhsa_exception_fp_ieee_underflow 0
		.amdhsa_exception_fp_ieee_inexact 0
		.amdhsa_exception_int_div_zero 0
	.end_amdhsa_kernel
	.section	.text._Z10vec_verifyIdEvPT_S0_i,"axG",@progbits,_Z10vec_verifyIdEvPT_S0_i,comdat
.Lfunc_end3:
	.size	_Z10vec_verifyIdEvPT_S0_i, .Lfunc_end3-_Z10vec_verifyIdEvPT_S0_i
                                        ; -- End function
	.set _Z10vec_verifyIdEvPT_S0_i.num_vgpr, 40
	.set _Z10vec_verifyIdEvPT_S0_i.num_agpr, 0
	.set _Z10vec_verifyIdEvPT_S0_i.numbered_sgpr, 30
	.set _Z10vec_verifyIdEvPT_S0_i.num_named_barrier, 0
	.set _Z10vec_verifyIdEvPT_S0_i.private_seg_size, 0
	.set _Z10vec_verifyIdEvPT_S0_i.uses_vcc, 1
	.set _Z10vec_verifyIdEvPT_S0_i.uses_flat_scratch, 0
	.set _Z10vec_verifyIdEvPT_S0_i.has_dyn_sized_stack, 0
	.set _Z10vec_verifyIdEvPT_S0_i.has_recursion, 0
	.set _Z10vec_verifyIdEvPT_S0_i.has_indirect_call, 0
	.section	.AMDGPU.csdata,"",@progbits
; Kernel info:
; codeLenInByte = 9052
; TotalNumSgprs: 32
; NumVgprs: 40
; ScratchSize: 0
; MemoryBound: 0
; FloatMode: 240
; IeeeMode: 1
; LDSByteSize: 0 bytes/workgroup (compile time only)
; SGPRBlocks: 0
; VGPRBlocks: 4
; NumSGPRsForWavesPerEU: 32
; NumVGPRsForWavesPerEU: 40
; Occupancy: 16
; WaveLimiterHint : 1
; COMPUTE_PGM_RSRC2:SCRATCH_EN: 0
; COMPUTE_PGM_RSRC2:USER_SGPR: 6
; COMPUTE_PGM_RSRC2:TRAP_HANDLER: 0
; COMPUTE_PGM_RSRC2:TGID_X_EN: 1
; COMPUTE_PGM_RSRC2:TGID_Y_EN: 0
; COMPUTE_PGM_RSRC2:TGID_Z_EN: 0
; COMPUTE_PGM_RSRC2:TIDIG_COMP_CNT: 0
	.section	.AMDGPU.gpr_maximums,"",@progbits
	.set amdgpu.max_num_vgpr, 0
	.set amdgpu.max_num_agpr, 0
	.set amdgpu.max_num_sgpr, 0
	.section	.AMDGPU.csdata,"",@progbits
	.type	.str,@object                    ; @.str
	.section	.rodata.str1.1,"aMS",@progbits,1
.str:
	.asciz	"failed at %d: val=%g, expected=%g\n"
	.size	.str, 35

	.type	.str.1,@object                  ; @.str.1
.str.1:
	.asciz	"failed at %d: val=%d, expected=%d\n"
	.size	.str.1, 35

	.type	__hip_cuid_f86687f56a6feea5,@object ; @__hip_cuid_f86687f56a6feea5
	.section	.bss,"aw",@nobits
	.globl	__hip_cuid_f86687f56a6feea5
__hip_cuid_f86687f56a6feea5:
	.byte	0                               ; 0x0
	.size	__hip_cuid_f86687f56a6feea5, 1

	.ident	"AMD clang version 22.0.0git (https://github.com/RadeonOpenCompute/llvm-project roc-7.2.4 26084 f58b06dce1f9c15707c5f808fd002e18c2accf7e)"
	.section	".note.GNU-stack","",@progbits
	.addrsig
	.addrsig_sym __hip_cuid_f86687f56a6feea5
	.amdgpu_metadata
---
amdhsa.kernels:
  - .args:
      - .address_space:  global
        .offset:         0
        .size:           8
        .value_kind:     global_buffer
      - .offset:         8
        .size:           4
        .value_kind:     by_value
      - .offset:         12
        .size:           4
        .value_kind:     by_value
      - .offset:         16
        .size:           4
        .value_kind:     hidden_block_count_x
      - .offset:         20
        .size:           4
        .value_kind:     hidden_block_count_y
      - .offset:         24
        .size:           4
        .value_kind:     hidden_block_count_z
      - .offset:         28
        .size:           2
        .value_kind:     hidden_group_size_x
      - .offset:         30
        .size:           2
        .value_kind:     hidden_group_size_y
      - .offset:         32
        .size:           2
        .value_kind:     hidden_group_size_z
      - .offset:         34
        .size:           2
        .value_kind:     hidden_remainder_x
      - .offset:         36
        .size:           2
        .value_kind:     hidden_remainder_y
      - .offset:         38
        .size:           2
        .value_kind:     hidden_remainder_z
      - .offset:         56
        .size:           8
        .value_kind:     hidden_global_offset_x
      - .offset:         64
        .size:           8
        .value_kind:     hidden_global_offset_y
      - .offset:         72
        .size:           8
        .value_kind:     hidden_global_offset_z
      - .offset:         80
        .size:           2
        .value_kind:     hidden_grid_dims
    .group_segment_fixed_size: 0
    .kernarg_segment_align: 8
    .kernarg_segment_size: 272
    .language:       OpenCL C
    .language_version:
      - 2
      - 0
    .max_flat_workgroup_size: 1024
    .name:           _Z8vec_fillIiEvPT_S0_i
    .private_segment_fixed_size: 0
    .sgpr_count:     10
    .sgpr_spill_count: 0
    .symbol:         _Z8vec_fillIiEvPT_S0_i.kd
    .uniform_work_group_size: 1
    .uses_dynamic_stack: false
    .vgpr_count:     4
    .vgpr_spill_count: 0
    .wavefront_size: 32
    .workgroup_processor_mode: 1
  - .args:
      - .address_space:  global
        .offset:         0
        .size:           8
        .value_kind:     global_buffer
      - .offset:         8
        .size:           4
        .value_kind:     by_value
      - .offset:         12
        .size:           4
        .value_kind:     by_value
      - .offset:         16
        .size:           4
        .value_kind:     hidden_block_count_x
      - .offset:         20
        .size:           4
        .value_kind:     hidden_block_count_y
      - .offset:         24
        .size:           4
        .value_kind:     hidden_block_count_z
      - .offset:         28
        .size:           2
        .value_kind:     hidden_group_size_x
      - .offset:         30
        .size:           2
        .value_kind:     hidden_group_size_y
      - .offset:         32
        .size:           2
        .value_kind:     hidden_group_size_z
      - .offset:         34
        .size:           2
        .value_kind:     hidden_remainder_x
      - .offset:         36
        .size:           2
        .value_kind:     hidden_remainder_y
      - .offset:         38
        .size:           2
        .value_kind:     hidden_remainder_z
      - .offset:         56
        .size:           8
        .value_kind:     hidden_global_offset_x
      - .offset:         64
        .size:           8
        .value_kind:     hidden_global_offset_y
      - .offset:         72
        .size:           8
        .value_kind:     hidden_global_offset_z
      - .offset:         80
        .size:           2
        .value_kind:     hidden_grid_dims
      - .offset:         96
        .size:           8
        .value_kind:     hidden_hostcall_buffer
    .group_segment_fixed_size: 0
    .kernarg_segment_align: 8
    .kernarg_segment_size: 272
    .language:       OpenCL C
    .language_version:
      - 2
      - 0
    .max_flat_workgroup_size: 1024
    .name:           _Z10vec_verifyIiEvPT_S0_i
    .private_segment_fixed_size: 0
    .sgpr_count:     32
    .sgpr_spill_count: 0
    .symbol:         _Z10vec_verifyIiEvPT_S0_i.kd
    .uniform_work_group_size: 1
    .uses_dynamic_stack: false
    .vgpr_count:     38
    .vgpr_spill_count: 0
    .wavefront_size: 32
    .workgroup_processor_mode: 1
  - .args:
      - .address_space:  global
        .offset:         0
        .size:           8
        .value_kind:     global_buffer
      - .offset:         8
        .size:           8
        .value_kind:     by_value
      - .offset:         16
        .size:           4
        .value_kind:     by_value
      - .offset:         24
        .size:           4
        .value_kind:     hidden_block_count_x
      - .offset:         28
        .size:           4
        .value_kind:     hidden_block_count_y
      - .offset:         32
        .size:           4
        .value_kind:     hidden_block_count_z
      - .offset:         36
        .size:           2
        .value_kind:     hidden_group_size_x
      - .offset:         38
        .size:           2
        .value_kind:     hidden_group_size_y
      - .offset:         40
        .size:           2
        .value_kind:     hidden_group_size_z
      - .offset:         42
        .size:           2
        .value_kind:     hidden_remainder_x
      - .offset:         44
        .size:           2
        .value_kind:     hidden_remainder_y
      - .offset:         46
        .size:           2
        .value_kind:     hidden_remainder_z
      - .offset:         64
        .size:           8
        .value_kind:     hidden_global_offset_x
      - .offset:         72
        .size:           8
        .value_kind:     hidden_global_offset_y
      - .offset:         80
        .size:           8
        .value_kind:     hidden_global_offset_z
      - .offset:         88
        .size:           2
        .value_kind:     hidden_grid_dims
    .group_segment_fixed_size: 0
    .kernarg_segment_align: 8
    .kernarg_segment_size: 280
    .language:       OpenCL C
    .language_version:
      - 2
      - 0
    .max_flat_workgroup_size: 1024
    .name:           _Z8vec_fillIdEvPT_S0_i
    .private_segment_fixed_size: 0
    .sgpr_count:     11
    .sgpr_spill_count: 0
    .symbol:         _Z8vec_fillIdEvPT_S0_i.kd
    .uniform_work_group_size: 1
    .uses_dynamic_stack: false
    .vgpr_count:     5
    .vgpr_spill_count: 0
    .wavefront_size: 32
    .workgroup_processor_mode: 1
  - .args:
      - .address_space:  global
        .offset:         0
        .size:           8
        .value_kind:     global_buffer
      - .offset:         8
        .size:           8
        .value_kind:     by_value
      - .offset:         16
        .size:           4
        .value_kind:     by_value
      - .offset:         24
        .size:           4
        .value_kind:     hidden_block_count_x
      - .offset:         28
        .size:           4
        .value_kind:     hidden_block_count_y
      - .offset:         32
        .size:           4
        .value_kind:     hidden_block_count_z
      - .offset:         36
        .size:           2
        .value_kind:     hidden_group_size_x
      - .offset:         38
        .size:           2
        .value_kind:     hidden_group_size_y
      - .offset:         40
        .size:           2
        .value_kind:     hidden_group_size_z
      - .offset:         42
        .size:           2
        .value_kind:     hidden_remainder_x
      - .offset:         44
        .size:           2
        .value_kind:     hidden_remainder_y
      - .offset:         46
        .size:           2
        .value_kind:     hidden_remainder_z
      - .offset:         64
        .size:           8
        .value_kind:     hidden_global_offset_x
      - .offset:         72
        .size:           8
        .value_kind:     hidden_global_offset_y
      - .offset:         80
        .size:           8
        .value_kind:     hidden_global_offset_z
      - .offset:         88
        .size:           2
        .value_kind:     hidden_grid_dims
      - .offset:         104
        .size:           8
        .value_kind:     hidden_hostcall_buffer
    .group_segment_fixed_size: 0
    .kernarg_segment_align: 8
    .kernarg_segment_size: 280
    .language:       OpenCL C
    .language_version:
      - 2
      - 0
    .max_flat_workgroup_size: 1024
    .name:           _Z10vec_verifyIdEvPT_S0_i
    .private_segment_fixed_size: 0
    .sgpr_count:     32
    .sgpr_spill_count: 0
    .symbol:         _Z10vec_verifyIdEvPT_S0_i.kd
    .uniform_work_group_size: 1
    .uses_dynamic_stack: false
    .vgpr_count:     40
    .vgpr_spill_count: 0
    .wavefront_size: 32
    .workgroup_processor_mode: 1
amdhsa.target:   amdgcn-amd-amdhsa--gfx1030
amdhsa.version:
  - 1
  - 2
...

	.end_amdgpu_metadata
